;; amdgpu-corpus repo=ROCm/rocFFT kind=compiled arch=gfx950 opt=O3
	.text
	.amdgcn_target "amdgcn-amd-amdhsa--gfx950"
	.amdhsa_code_object_version 6
	.protected	fft_rtc_back_len884_factors_13_4_17_wgs_204_tpt_68_halfLds_dp_ip_CI_unitstride_sbrr_dirReg ; -- Begin function fft_rtc_back_len884_factors_13_4_17_wgs_204_tpt_68_halfLds_dp_ip_CI_unitstride_sbrr_dirReg
	.globl	fft_rtc_back_len884_factors_13_4_17_wgs_204_tpt_68_halfLds_dp_ip_CI_unitstride_sbrr_dirReg
	.p2align	8
	.type	fft_rtc_back_len884_factors_13_4_17_wgs_204_tpt_68_halfLds_dp_ip_CI_unitstride_sbrr_dirReg,@function
fft_rtc_back_len884_factors_13_4_17_wgs_204_tpt_68_halfLds_dp_ip_CI_unitstride_sbrr_dirReg: ; @fft_rtc_back_len884_factors_13_4_17_wgs_204_tpt_68_halfLds_dp_ip_CI_unitstride_sbrr_dirReg
; %bb.0:
	s_load_dwordx2 s[8:9], s[0:1], 0x50
	s_load_dwordx4 s[4:7], s[0:1], 0x0
	s_load_dwordx2 s[10:11], s[0:1], 0x18
	v_mul_u32_u24_e32 v1, 0x3c4, v0
	v_lshrrev_b32_e32 v2, 16, v1
	v_mad_u64_u32 v[40:41], s[2:3], s2, 3, v[2:3]
	v_mov_b32_e32 v4, 0
	v_mov_b32_e32 v41, v4
	s_waitcnt lgkmcnt(0)
	v_cmp_lt_u64_e64 s[2:3], s[6:7], 2
	s_and_b64 vcc, exec, s[2:3]
	v_mov_b64_e32 v[2:3], 0
	v_mov_b64_e32 v[8:9], v[40:41]
	s_cbranch_vccnz .LBB0_8
; %bb.1:
	s_load_dwordx2 s[2:3], s[0:1], 0x10
	s_add_u32 s12, s10, 8
	s_addc_u32 s13, s11, 0
	s_mov_b64 s[14:15], 1
	v_mov_b64_e32 v[2:3], 0
	s_waitcnt lgkmcnt(0)
	s_add_u32 s16, s2, 8
	s_addc_u32 s17, s3, 0
	v_mov_b64_e32 v[6:7], v[40:41]
.LBB0_2:                                ; =>This Inner Loop Header: Depth=1
	s_load_dwordx2 s[18:19], s[16:17], 0x0
                                        ; implicit-def: $vgpr8_vgpr9
	s_waitcnt lgkmcnt(0)
	v_or_b32_e32 v5, s19, v7
	v_cmp_ne_u64_e32 vcc, 0, v[4:5]
	s_and_saveexec_b64 s[2:3], vcc
	s_xor_b64 s[20:21], exec, s[2:3]
	s_cbranch_execz .LBB0_4
; %bb.3:                                ;   in Loop: Header=BB0_2 Depth=1
	v_cvt_f32_u32_e32 v1, s18
	v_cvt_f32_u32_e32 v5, s19
	s_sub_u32 s2, 0, s18
	s_subb_u32 s3, 0, s19
	v_fmac_f32_e32 v1, 0x4f800000, v5
	v_rcp_f32_e32 v1, v1
	s_nop 0
	v_mul_f32_e32 v1, 0x5f7ffffc, v1
	v_mul_f32_e32 v5, 0x2f800000, v1
	v_trunc_f32_e32 v5, v5
	v_fmac_f32_e32 v1, 0xcf800000, v5
	v_cvt_u32_f32_e32 v5, v5
	v_cvt_u32_f32_e32 v1, v1
	v_mul_lo_u32 v8, s2, v5
	v_mul_hi_u32 v10, s2, v1
	v_mul_lo_u32 v9, s3, v1
	v_add_u32_e32 v10, v10, v8
	v_mul_lo_u32 v12, s2, v1
	v_add_u32_e32 v13, v10, v9
	v_mul_hi_u32 v8, v1, v12
	v_mul_hi_u32 v11, v1, v13
	v_mul_lo_u32 v10, v1, v13
	v_mov_b32_e32 v9, v4
	v_lshl_add_u64 v[8:9], v[8:9], 0, v[10:11]
	v_mul_hi_u32 v11, v5, v12
	v_mul_lo_u32 v12, v5, v12
	v_add_co_u32_e32 v8, vcc, v8, v12
	v_mul_hi_u32 v10, v5, v13
	s_nop 0
	v_addc_co_u32_e32 v8, vcc, v9, v11, vcc
	v_mov_b32_e32 v9, v4
	s_nop 0
	v_addc_co_u32_e32 v11, vcc, 0, v10, vcc
	v_mul_lo_u32 v10, v5, v13
	v_lshl_add_u64 v[8:9], v[8:9], 0, v[10:11]
	v_add_co_u32_e32 v1, vcc, v1, v8
	v_mul_lo_u32 v10, s2, v1
	s_nop 0
	v_addc_co_u32_e32 v5, vcc, v5, v9, vcc
	v_mul_lo_u32 v8, s2, v5
	v_mul_hi_u32 v9, s2, v1
	v_add_u32_e32 v8, v9, v8
	v_mul_lo_u32 v9, s3, v1
	v_add_u32_e32 v12, v8, v9
	v_mul_hi_u32 v14, v5, v10
	v_mul_lo_u32 v15, v5, v10
	v_mul_hi_u32 v9, v1, v12
	v_mul_lo_u32 v8, v1, v12
	v_mul_hi_u32 v10, v1, v10
	v_mov_b32_e32 v11, v4
	v_lshl_add_u64 v[8:9], v[10:11], 0, v[8:9]
	v_add_co_u32_e32 v8, vcc, v8, v15
	v_mul_hi_u32 v13, v5, v12
	s_nop 0
	v_addc_co_u32_e32 v8, vcc, v9, v14, vcc
	v_mul_lo_u32 v10, v5, v12
	s_nop 0
	v_addc_co_u32_e32 v11, vcc, 0, v13, vcc
	v_mov_b32_e32 v9, v4
	v_lshl_add_u64 v[8:9], v[8:9], 0, v[10:11]
	v_add_co_u32_e32 v1, vcc, v1, v8
	v_mul_hi_u32 v10, v6, v1
	s_nop 0
	v_addc_co_u32_e32 v5, vcc, v5, v9, vcc
	v_mad_u64_u32 v[8:9], s[2:3], v6, v5, 0
	v_mov_b32_e32 v11, v4
	v_lshl_add_u64 v[8:9], v[10:11], 0, v[8:9]
	v_mad_u64_u32 v[12:13], s[2:3], v7, v1, 0
	v_add_co_u32_e32 v1, vcc, v8, v12
	v_mad_u64_u32 v[10:11], s[2:3], v7, v5, 0
	s_nop 0
	v_addc_co_u32_e32 v8, vcc, v9, v13, vcc
	v_mov_b32_e32 v9, v4
	s_nop 0
	v_addc_co_u32_e32 v11, vcc, 0, v11, vcc
	v_lshl_add_u64 v[8:9], v[8:9], 0, v[10:11]
	v_mul_lo_u32 v1, s19, v8
	v_mul_lo_u32 v5, s18, v9
	v_mad_u64_u32 v[10:11], s[2:3], s18, v8, 0
	v_add3_u32 v1, v11, v5, v1
	v_sub_u32_e32 v5, v7, v1
	v_mov_b32_e32 v11, s19
	v_sub_co_u32_e32 v14, vcc, v6, v10
	v_lshl_add_u64 v[12:13], v[8:9], 0, 1
	s_nop 0
	v_subb_co_u32_e64 v5, s[2:3], v5, v11, vcc
	v_subrev_co_u32_e64 v10, s[2:3], s18, v14
	v_subb_co_u32_e32 v1, vcc, v7, v1, vcc
	s_nop 0
	v_subbrev_co_u32_e64 v5, s[2:3], 0, v5, s[2:3]
	v_cmp_le_u32_e64 s[2:3], s19, v5
	v_cmp_le_u32_e32 vcc, s19, v1
	s_nop 0
	v_cndmask_b32_e64 v11, 0, -1, s[2:3]
	v_cmp_le_u32_e64 s[2:3], s18, v10
	s_nop 1
	v_cndmask_b32_e64 v10, 0, -1, s[2:3]
	v_cmp_eq_u32_e64 s[2:3], s19, v5
	s_nop 1
	v_cndmask_b32_e64 v5, v11, v10, s[2:3]
	v_lshl_add_u64 v[10:11], v[8:9], 0, 2
	v_cmp_ne_u32_e64 s[2:3], 0, v5
	s_nop 1
	v_cndmask_b32_e64 v5, v13, v11, s[2:3]
	v_cndmask_b32_e64 v11, 0, -1, vcc
	v_cmp_le_u32_e32 vcc, s18, v14
	s_nop 1
	v_cndmask_b32_e64 v13, 0, -1, vcc
	v_cmp_eq_u32_e32 vcc, s19, v1
	s_nop 1
	v_cndmask_b32_e32 v1, v11, v13, vcc
	v_cmp_ne_u32_e32 vcc, 0, v1
	v_cndmask_b32_e64 v1, v12, v10, s[2:3]
	s_nop 0
	v_cndmask_b32_e32 v9, v9, v5, vcc
	v_cndmask_b32_e32 v8, v8, v1, vcc
.LBB0_4:                                ;   in Loop: Header=BB0_2 Depth=1
	s_andn2_saveexec_b64 s[2:3], s[20:21]
	s_cbranch_execz .LBB0_6
; %bb.5:                                ;   in Loop: Header=BB0_2 Depth=1
	v_cvt_f32_u32_e32 v1, s18
	s_sub_i32 s20, 0, s18
	v_rcp_iflag_f32_e32 v1, v1
	s_nop 0
	v_mul_f32_e32 v1, 0x4f7ffffe, v1
	v_cvt_u32_f32_e32 v1, v1
	v_mul_lo_u32 v5, s20, v1
	v_mul_hi_u32 v5, v1, v5
	v_add_u32_e32 v1, v1, v5
	v_mul_hi_u32 v1, v6, v1
	v_mul_lo_u32 v5, v1, s18
	v_sub_u32_e32 v5, v6, v5
	v_add_u32_e32 v8, 1, v1
	v_subrev_u32_e32 v9, s18, v5
	v_cmp_le_u32_e32 vcc, s18, v5
	s_nop 1
	v_cndmask_b32_e32 v5, v5, v9, vcc
	v_cndmask_b32_e32 v1, v1, v8, vcc
	v_add_u32_e32 v8, 1, v1
	v_cmp_le_u32_e32 vcc, s18, v5
	v_mov_b32_e32 v9, v4
	s_nop 0
	v_cndmask_b32_e32 v8, v1, v8, vcc
.LBB0_6:                                ;   in Loop: Header=BB0_2 Depth=1
	s_or_b64 exec, exec, s[2:3]
	v_mad_u64_u32 v[10:11], s[2:3], v8, s18, 0
	s_load_dwordx2 s[2:3], s[12:13], 0x0
	v_mul_lo_u32 v1, v9, s18
	v_mul_lo_u32 v5, v8, s19
	v_add3_u32 v1, v11, v5, v1
	v_sub_co_u32_e32 v5, vcc, v6, v10
	s_add_u32 s14, s14, 1
	s_nop 0
	v_subb_co_u32_e32 v1, vcc, v7, v1, vcc
	s_addc_u32 s15, s15, 0
	s_waitcnt lgkmcnt(0)
	v_mul_lo_u32 v1, s2, v1
	v_mul_lo_u32 v6, s3, v5
	v_mad_u64_u32 v[2:3], s[2:3], s2, v5, v[2:3]
	s_add_u32 s12, s12, 8
	v_add3_u32 v3, v6, v3, v1
	s_addc_u32 s13, s13, 0
	v_mov_b64_e32 v[6:7], s[6:7]
	s_add_u32 s16, s16, 8
	v_cmp_ge_u64_e32 vcc, s[14:15], v[6:7]
	s_addc_u32 s17, s17, 0
	s_cbranch_vccnz .LBB0_8
; %bb.7:                                ;   in Loop: Header=BB0_2 Depth=1
	v_mov_b64_e32 v[6:7], v[8:9]
	s_branch .LBB0_2
.LBB0_8:
	s_lshl_b64 s[2:3], s[6:7], 3
	s_add_u32 s2, s10, s2
	s_addc_u32 s3, s11, s3
	s_load_dwordx2 s[6:7], s[2:3], 0x0
	s_load_dwordx2 s[10:11], s[0:1], 0x20
	s_mov_b32 s2, 0x3c3c3c4
                                        ; implicit-def: $vgpr38_vgpr39
                                        ; implicit-def: $vgpr26_vgpr27
                                        ; implicit-def: $vgpr10_vgpr11
                                        ; implicit-def: $vgpr34_vgpr35
                                        ; implicit-def: $vgpr46_vgpr47
                                        ; implicit-def: $vgpr54_vgpr55
                                        ; implicit-def: $vgpr50_vgpr51
                                        ; implicit-def: $vgpr18_vgpr19
                                        ; implicit-def: $vgpr6_vgpr7
                                        ; implicit-def: $vgpr14_vgpr15
                                        ; implicit-def: $vgpr22_vgpr23
                                        ; implicit-def: $vgpr30_vgpr31
	s_waitcnt lgkmcnt(0)
	v_mul_lo_u32 v1, s6, v9
	v_mul_lo_u32 v4, s7, v8
	v_mad_u64_u32 v[2:3], s[0:1], s6, v8, v[2:3]
	v_add3_u32 v3, v4, v3, v1
	v_mul_hi_u32 v1, v0, s2
	v_mul_u32_u24_e32 v1, 0x44, v1
	v_cmp_gt_u64_e64 s[0:1], s[10:11], v[8:9]
	v_sub_u32_e32 v102, v0, v1
	v_lshl_add_u64 v[100:101], v[2:3], 4, s[8:9]
                                        ; implicit-def: $vgpr2_vgpr3
	s_and_saveexec_b64 s[2:3], s[0:1]
	s_cbranch_execz .LBB0_10
; %bb.9:
	v_mov_b32_e32 v103, 0
	v_lshl_add_u64 v[42:43], v[102:103], 4, v[100:101]
	s_movk_i32 s6, 0x1000
	v_add_co_u32_e32 v16, vcc, s6, v42
	s_movk_i32 s6, 0x2000
	s_nop 0
	v_addc_co_u32_e32 v17, vcc, 0, v43, vcc
	v_add_co_u32_e32 v52, vcc, s6, v42
	global_load_dwordx4 v[28:31], v[42:43], off
	global_load_dwordx4 v[36:39], v[42:43], off offset:1088
	global_load_dwordx4 v[24:27], v[42:43], off offset:2176
	;; [unrolled: 1-line block ×3, first 2 shown]
	v_addc_co_u32_e32 v53, vcc, 0, v43, vcc
	global_load_dwordx4 v[12:15], v[16:17], off offset:256
	global_load_dwordx4 v[8:11], v[16:17], off offset:1344
	;; [unrolled: 1-line block ×4, first 2 shown]
	s_nop 0
	global_load_dwordx4 v[16:19], v[52:53], off offset:512
	global_load_dwordx4 v[32:35], v[52:53], off offset:1600
	;; [unrolled: 1-line block ×4, first 2 shown]
	v_add_co_u32_e32 v42, vcc, 0x3000, v42
	s_nop 1
	v_addc_co_u32_e32 v43, vcc, 0, v43, vcc
	global_load_dwordx4 v[52:55], v[42:43], off offset:768
.LBB0_10:
	s_or_b64 exec, exec, s[2:3]
	s_mov_b32 s2, 0xaaaaaaab
	v_mul_hi_u32 v41, v40, s2
	v_lshrrev_b32_e32 v41, 1, v41
	v_lshl_add_u32 v41, v41, 1, v41
	v_sub_u32_e32 v40, v40, v41
	v_mul_u32_u24_e32 v103, 0x374, v40
	s_waitcnt vmcnt(11)
	v_add_f64 v[40:41], v[36:37], v[28:29]
	s_waitcnt vmcnt(10)
	v_add_f64 v[40:41], v[24:25], v[40:41]
	;; [unrolled: 2-line block ×10, first 2 shown]
	s_mov_b32 s30, 0x4267c47c
	s_mov_b32 s18, 0x42a4c3d2
	;; [unrolled: 1-line block ×6, first 2 shown]
	s_waitcnt vmcnt(1)
	v_add_f64 v[40:41], v[48:49], v[40:41]
	s_waitcnt vmcnt(0)
	v_add_f64 v[56:57], v[38:39], -v[54:55]
	s_mov_b32 s31, 0xbfddbe06
	s_mov_b32 s8, 0xe00740e9
	;; [unrolled: 1-line block ×12, first 2 shown]
	v_add_f64 v[42:43], v[52:53], v[40:41]
	v_add_f64 v[40:41], v[36:37], v[52:53]
	v_mul_f64 v[58:59], v[56:57], s[30:31]
	s_mov_b32 s9, 0x3fec55a7
	v_mul_f64 v[62:63], v[56:57], s[18:19]
	s_mov_b32 s7, 0x3fe22d96
	;; [unrolled: 2-line block ×6, first 2 shown]
	v_fma_f64 v[60:61], s[8:9], v[40:41], v[58:59]
	v_fma_f64 v[58:59], v[40:41], s[8:9], -v[58:59]
	v_fma_f64 v[64:65], s[6:7], v[40:41], v[62:63]
	v_fma_f64 v[62:63], v[40:41], s[6:7], -v[62:63]
	v_fma_f64 v[68:69], s[2:3], v[40:41], v[66:67]
	v_fma_f64 v[66:67], v[40:41], s[2:3], -v[66:67]
	v_fma_f64 v[72:73], s[10:11], v[40:41], v[70:71]
	v_fma_f64 v[70:71], v[40:41], s[10:11], -v[70:71]
	v_fma_f64 v[76:77], s[14:15], v[40:41], v[74:75]
	v_fma_f64 v[74:75], v[40:41], s[14:15], -v[74:75]
	v_fma_f64 v[78:79], s[20:21], v[40:41], v[56:57]
	v_fma_f64 v[40:41], v[40:41], s[20:21], -v[56:57]
	v_add_f64 v[56:57], v[26:27], -v[50:51]
	v_add_f64 v[60:61], v[60:61], v[28:29]
	v_add_f64 v[58:59], v[58:59], v[28:29]
	;; [unrolled: 1-line block ×13, first 2 shown]
	v_mul_f64 v[80:81], v[56:57], s[18:19]
	v_fma_f64 v[82:83], s[6:7], v[40:41], v[80:81]
	v_fma_f64 v[80:81], v[40:41], s[6:7], -v[80:81]
	v_add_f64 v[58:59], v[80:81], v[58:59]
	v_mul_f64 v[80:81], v[56:57], s[12:13]
	v_add_f64 v[60:61], v[82:83], v[60:61]
	v_fma_f64 v[82:83], s[10:11], v[40:41], v[80:81]
	v_fma_f64 v[80:81], v[40:41], s[10:11], -v[80:81]
	v_add_f64 v[62:63], v[80:81], v[62:63]
	v_mul_f64 v[80:81], v[56:57], s[22:23]
	v_add_f64 v[64:65], v[82:83], v[64:65]
	v_fma_f64 v[82:83], s[20:21], v[40:41], v[80:81]
	v_fma_f64 v[80:81], v[40:41], s[20:21], -v[80:81]
	s_mov_b32 s35, 0x3fe5384d
	s_mov_b32 s34, s16
	v_add_f64 v[66:67], v[80:81], v[66:67]
	v_mul_f64 v[80:81], v[56:57], s[34:35]
	v_add_f64 v[68:69], v[82:83], v[68:69]
	v_fma_f64 v[82:83], s[14:15], v[40:41], v[80:81]
	v_fma_f64 v[80:81], v[40:41], s[14:15], -v[80:81]
	s_mov_b32 s27, 0x3fefc445
	s_mov_b32 s26, s24
	v_add_f64 v[70:71], v[80:81], v[70:71]
	v_mul_f64 v[80:81], v[56:57], s[26:27]
	s_mov_b32 s29, 0x3fddbe06
	s_mov_b32 s28, s30
	v_add_f64 v[72:73], v[82:83], v[72:73]
	v_fma_f64 v[82:83], s[2:3], v[40:41], v[80:81]
	v_fma_f64 v[80:81], v[40:41], s[2:3], -v[80:81]
	v_mul_f64 v[56:57], v[56:57], s[28:29]
	v_add_f64 v[74:75], v[80:81], v[74:75]
	v_fma_f64 v[80:81], s[8:9], v[40:41], v[56:57]
	v_fma_f64 v[40:41], v[40:41], s[8:9], -v[56:57]
	v_add_f64 v[56:57], v[22:23], -v[46:47]
	v_add_f64 v[78:79], v[80:81], v[78:79]
	v_add_f64 v[28:29], v[40:41], v[28:29]
	;; [unrolled: 1-line block ×3, first 2 shown]
	v_mul_f64 v[80:81], v[56:57], s[24:25]
	v_add_f64 v[76:77], v[82:83], v[76:77]
	v_fma_f64 v[82:83], s[2:3], v[40:41], v[80:81]
	v_fma_f64 v[80:81], v[40:41], s[2:3], -v[80:81]
	v_add_f64 v[58:59], v[80:81], v[58:59]
	v_mul_f64 v[80:81], v[56:57], s[22:23]
	v_add_f64 v[60:61], v[82:83], v[60:61]
	v_fma_f64 v[82:83], s[20:21], v[40:41], v[80:81]
	v_fma_f64 v[80:81], v[40:41], s[20:21], -v[80:81]
	s_mov_b32 s41, 0x3fedeba7
	s_mov_b32 s40, s12
	v_add_f64 v[62:63], v[80:81], v[62:63]
	v_mul_f64 v[80:81], v[56:57], s[40:41]
	v_add_f64 v[64:65], v[82:83], v[64:65]
	v_fma_f64 v[82:83], s[10:11], v[40:41], v[80:81]
	v_fma_f64 v[80:81], v[40:41], s[10:11], -v[80:81]
	v_add_f64 v[66:67], v[80:81], v[66:67]
	v_mul_f64 v[80:81], v[56:57], s[28:29]
	v_add_f64 v[68:69], v[82:83], v[68:69]
	v_fma_f64 v[82:83], s[8:9], v[40:41], v[80:81]
	v_fma_f64 v[80:81], v[40:41], s[8:9], -v[80:81]
	;; [unrolled: 5-line block ×3, first 2 shown]
	v_mul_f64 v[56:57], v[56:57], s[16:17]
	v_add_f64 v[74:75], v[80:81], v[74:75]
	v_fma_f64 v[80:81], s[14:15], v[40:41], v[56:57]
	v_fma_f64 v[40:41], v[40:41], s[14:15], -v[56:57]
	v_add_f64 v[56:57], v[14:15], -v[34:35]
	v_add_f64 v[78:79], v[80:81], v[78:79]
	v_add_f64 v[28:29], v[40:41], v[28:29]
	;; [unrolled: 1-line block ×3, first 2 shown]
	v_mul_f64 v[80:81], v[56:57], s[12:13]
	v_add_f64 v[76:77], v[82:83], v[76:77]
	v_fma_f64 v[82:83], s[10:11], v[40:41], v[80:81]
	v_fma_f64 v[80:81], v[40:41], s[10:11], -v[80:81]
	v_add_f64 v[58:59], v[80:81], v[58:59]
	v_mul_f64 v[80:81], v[56:57], s[34:35]
	v_add_f64 v[60:61], v[82:83], v[60:61]
	v_fma_f64 v[82:83], s[14:15], v[40:41], v[80:81]
	v_fma_f64 v[80:81], v[40:41], s[14:15], -v[80:81]
	v_add_f64 v[62:63], v[80:81], v[62:63]
	;; [unrolled: 5-line block ×3, first 2 shown]
	v_mul_f64 v[80:81], v[56:57], s[24:25]
	v_add_f64 v[68:69], v[82:83], v[68:69]
	v_fma_f64 v[82:83], s[2:3], v[40:41], v[80:81]
	v_fma_f64 v[80:81], v[40:41], s[2:3], -v[80:81]
	s_mov_b32 s39, 0x3fcea1e5
	s_mov_b32 s38, s22
	v_add_f64 v[70:71], v[80:81], v[70:71]
	v_mul_f64 v[80:81], v[56:57], s[38:39]
	s_mov_b32 s37, 0x3fea55e2
	s_mov_b32 s36, s18
	v_add_f64 v[72:73], v[82:83], v[72:73]
	v_fma_f64 v[82:83], s[20:21], v[40:41], v[80:81]
	v_fma_f64 v[80:81], v[40:41], s[20:21], -v[80:81]
	v_mul_f64 v[56:57], v[56:57], s[36:37]
	v_add_f64 v[74:75], v[80:81], v[74:75]
	v_fma_f64 v[80:81], s[6:7], v[40:41], v[56:57]
	v_fma_f64 v[40:41], v[40:41], s[6:7], -v[56:57]
	v_add_f64 v[56:57], v[10:11], -v[18:19]
	v_add_f64 v[78:79], v[80:81], v[78:79]
	v_add_f64 v[28:29], v[40:41], v[28:29]
	v_add_f64 v[40:41], v[8:9], v[16:17]
	v_mul_f64 v[80:81], v[56:57], s[16:17]
	v_add_f64 v[76:77], v[82:83], v[76:77]
	v_fma_f64 v[82:83], s[14:15], v[40:41], v[80:81]
	v_fma_f64 v[80:81], v[40:41], s[14:15], -v[80:81]
	v_add_f64 v[58:59], v[80:81], v[58:59]
	v_mul_f64 v[80:81], v[56:57], s[26:27]
	v_add_f64 v[60:61], v[82:83], v[60:61]
	v_fma_f64 v[82:83], s[2:3], v[40:41], v[80:81]
	v_fma_f64 v[80:81], v[40:41], s[2:3], -v[80:81]
	v_add_f64 v[62:63], v[80:81], v[62:63]
	;; [unrolled: 5-line block ×4, first 2 shown]
	v_mul_f64 v[80:81], v[56:57], s[28:29]
	v_add_f64 v[72:73], v[82:83], v[72:73]
	v_fma_f64 v[82:83], s[8:9], v[40:41], v[80:81]
	v_fma_f64 v[80:81], v[40:41], s[8:9], -v[80:81]
	v_mul_f64 v[56:57], v[56:57], s[12:13]
	v_add_f64 v[74:75], v[80:81], v[74:75]
	v_fma_f64 v[80:81], s[10:11], v[40:41], v[56:57]
	v_fma_f64 v[40:41], v[40:41], s[10:11], -v[56:57]
	v_add_f64 v[84:85], v[2:3], -v[6:7]
	v_add_f64 v[76:77], v[82:83], v[76:77]
	v_add_f64 v[78:79], v[80:81], v[78:79]
	v_add_f64 v[80:81], v[40:41], v[28:29]
	v_add_f64 v[82:83], v[0:1], v[4:5]
	v_mul_f64 v[28:29], v[84:85], s[22:23]
	v_fma_f64 v[40:41], s[20:21], v[82:83], v[28:29]
	v_fma_f64 v[28:29], v[82:83], s[20:21], -v[28:29]
	v_add_f64 v[60:61], v[40:41], v[60:61]
	v_add_f64 v[40:41], v[28:29], v[58:59]
	v_mul_f64 v[28:29], v[84:85], s[28:29]
	v_fma_f64 v[56:57], s[8:9], v[82:83], v[28:29]
	v_add_f64 v[58:59], v[56:57], v[64:65]
	v_fma_f64 v[28:29], v[82:83], s[8:9], -v[28:29]
	v_mul_f64 v[56:57], v[84:85], s[16:17]
	v_add_f64 v[28:29], v[28:29], v[62:63]
	v_fma_f64 v[62:63], s[14:15], v[82:83], v[56:57]
	v_fma_f64 v[56:57], v[82:83], s[14:15], -v[56:57]
	v_mul_f64 v[64:65], v[84:85], s[36:37]
	v_add_f64 v[62:63], v[62:63], v[68:69]
	v_add_f64 v[56:57], v[56:57], v[66:67]
	v_fma_f64 v[66:67], s[6:7], v[82:83], v[64:65]
	v_fma_f64 v[64:65], v[82:83], s[6:7], -v[64:65]
	v_mul_f64 v[68:69], v[84:85], s[12:13]
	v_add_f64 v[64:65], v[64:65], v[70:71]
	v_fma_f64 v[70:71], s[10:11], v[82:83], v[68:69]
	v_add_f64 v[66:67], v[66:67], v[72:73]
	v_add_f64 v[70:71], v[70:71], v[76:77]
	v_fma_f64 v[68:69], v[82:83], s[10:11], -v[68:69]
	v_mul_f64 v[72:73], v[84:85], s[26:27]
	v_lshl_add_u32 v76, v103, 3, 0
	s_movk_i32 s33, 0x68
	v_add_f64 v[68:69], v[68:69], v[74:75]
	v_fma_f64 v[74:75], s[2:3], v[82:83], v[72:73]
	v_fma_f64 v[72:73], v[82:83], s[2:3], -v[72:73]
	v_mad_u32_u24 v82, v102, s33, v76
	s_movk_i32 s33, 0xffa0
	v_mad_i32_i24 v108, v102, s33, v82
	v_add_f64 v[74:75], v[74:75], v[78:79]
	v_add_f64 v[72:73], v[72:73], v[80:81]
	v_add_u32_e32 v83, 0x400, v108
	v_add_u32_e32 v84, 0x800, v108
	;; [unrolled: 1-line block ×4, first 2 shown]
	ds_write2_b64 v82, v[42:43], v[60:61] offset1:1
	ds_write2_b64 v82, v[58:59], v[62:63] offset0:2 offset1:3
	ds_write2_b64 v82, v[66:67], v[70:71] offset0:4 offset1:5
	;; [unrolled: 1-line block ×5, first 2 shown]
	ds_write_b64 v82, v[40:41] offset:96
	s_waitcnt lgkmcnt(0)
	s_barrier
	v_lshl_add_u32 v109, v102, 3, v76
	ds_read2_b64 v[72:75], v83 offset0:93 offset1:161
	ds_read2_b64 v[56:59], v84 offset0:101 offset1:186
	;; [unrolled: 1-line block ×5, first 2 shown]
	ds_read_b64 v[28:29], v109
	ds_read_b64 v[96:97], v108 offset:6392
	v_cmp_gt_u32_e32 vcc, 17, v102
                                        ; implicit-def: $vgpr64_vgpr65
	s_and_saveexec_b64 s[42:43], vcc
	s_cbranch_execz .LBB0_12
; %bb.11:
	v_add_u32_e32 v40, 0x600, v108
	v_add_u32_e32 v64, 0x1400, v108
	ds_read2_b64 v[40:43], v40 offset0:12 offset1:233
	ds_read2_b64 v[64:67], v64 offset0:6 offset1:227
.LBB0_12:
	s_or_b64 exec, exec, s[42:43]
	v_add_f64 v[80:81], v[38:39], v[30:31]
	v_add_f64 v[80:81], v[26:27], v[80:81]
	;; [unrolled: 1-line block ×10, first 2 shown]
	v_add_f64 v[36:37], v[36:37], -v[52:53]
	v_add_f64 v[80:81], v[50:51], v[80:81]
	v_add_f64 v[38:39], v[38:39], v[54:55]
	v_mul_f64 v[52:53], v[36:37], s[30:31]
	v_mul_f64 v[88:89], v[36:37], s[18:19]
	;; [unrolled: 1-line block ×6, first 2 shown]
	v_add_f64 v[80:81], v[54:55], v[80:81]
	v_fma_f64 v[54:55], v[38:39], s[8:9], -v[52:53]
	v_fmac_f64_e32 v[52:53], s[8:9], v[38:39]
	v_fma_f64 v[90:91], v[38:39], s[6:7], -v[88:89]
	v_fmac_f64_e32 v[88:89], s[6:7], v[38:39]
	;; [unrolled: 2-line block ×6, first 2 shown]
	v_add_f64 v[24:25], v[24:25], -v[48:49]
	v_add_f64 v[54:55], v[54:55], v[30:31]
	v_add_f64 v[52:53], v[52:53], v[30:31]
	;; [unrolled: 1-line block ×13, first 2 shown]
	v_mul_f64 v[36:37], v[24:25], s[18:19]
	v_fma_f64 v[38:39], v[26:27], s[6:7], -v[36:37]
	v_fmac_f64_e32 v[36:37], s[6:7], v[26:27]
	v_mul_f64 v[48:49], v[24:25], s[12:13]
	v_add_f64 v[36:37], v[36:37], v[52:53]
	v_fma_f64 v[50:51], v[26:27], s[10:11], -v[48:49]
	v_fmac_f64_e32 v[48:49], s[10:11], v[26:27]
	v_mul_f64 v[52:53], v[24:25], s[22:23]
	v_add_f64 v[38:39], v[38:39], v[54:55]
	v_add_f64 v[48:49], v[48:49], v[88:89]
	v_fma_f64 v[54:55], v[26:27], s[20:21], -v[52:53]
	v_fmac_f64_e32 v[52:53], s[20:21], v[26:27]
	v_mul_f64 v[88:89], v[24:25], s[34:35]
	v_add_f64 v[50:51], v[50:51], v[90:91]
	v_add_f64 v[52:53], v[52:53], v[92:93]
	v_fma_f64 v[90:91], v[26:27], s[14:15], -v[88:89]
	v_fmac_f64_e32 v[88:89], s[14:15], v[26:27]
	v_mul_f64 v[92:93], v[24:25], s[26:27]
	v_mul_f64 v[24:25], v[24:25], s[28:29]
	v_add_f64 v[20:21], v[20:21], -v[44:45]
	v_add_f64 v[54:55], v[54:55], v[94:95]
	v_add_f64 v[88:89], v[88:89], v[98:99]
	v_fma_f64 v[94:95], v[26:27], s[2:3], -v[92:93]
	v_fmac_f64_e32 v[92:93], s[2:3], v[26:27]
	v_fma_f64 v[98:99], v[26:27], s[8:9], -v[24:25]
	v_fmac_f64_e32 v[24:25], s[8:9], v[26:27]
	v_add_f64 v[22:23], v[46:47], v[22:23]
	v_mul_f64 v[26:27], v[20:21], s[24:25]
	v_add_f64 v[24:25], v[24:25], v[30:31]
	v_fma_f64 v[30:31], v[22:23], s[2:3], -v[26:27]
	v_fmac_f64_e32 v[26:27], s[2:3], v[22:23]
	v_add_f64 v[26:27], v[26:27], v[36:37]
	v_mul_f64 v[36:37], v[20:21], s[22:23]
	v_add_f64 v[30:31], v[30:31], v[38:39]
	v_fma_f64 v[38:39], v[22:23], s[20:21], -v[36:37]
	v_fmac_f64_e32 v[36:37], s[20:21], v[22:23]
	v_mul_f64 v[44:45], v[20:21], s[40:41]
	v_add_f64 v[36:37], v[36:37], v[48:49]
	v_fma_f64 v[46:47], v[22:23], s[10:11], -v[44:45]
	v_fmac_f64_e32 v[44:45], s[10:11], v[22:23]
	v_mul_f64 v[48:49], v[20:21], s[28:29]
	v_add_f64 v[38:39], v[38:39], v[50:51]
	v_add_f64 v[44:45], v[44:45], v[52:53]
	v_fma_f64 v[50:51], v[22:23], s[8:9], -v[48:49]
	v_fmac_f64_e32 v[48:49], s[8:9], v[22:23]
	v_mul_f64 v[52:53], v[20:21], s[18:19]
	v_mul_f64 v[20:21], v[20:21], s[16:17]
	v_add_f64 v[12:13], v[12:13], -v[32:33]
	v_add_f64 v[46:47], v[46:47], v[54:55]
	v_add_f64 v[48:49], v[48:49], v[88:89]
	v_fma_f64 v[54:55], v[22:23], s[6:7], -v[52:53]
	v_fmac_f64_e32 v[52:53], s[6:7], v[22:23]
	v_fma_f64 v[88:89], v[22:23], s[14:15], -v[20:21]
	v_fmac_f64_e32 v[20:21], s[14:15], v[22:23]
	v_add_f64 v[14:15], v[34:35], v[14:15]
	v_mul_f64 v[22:23], v[12:13], s[12:13]
	v_add_f64 v[20:21], v[20:21], v[24:25]
	v_fma_f64 v[24:25], v[14:15], s[10:11], -v[22:23]
	v_fmac_f64_e32 v[22:23], s[10:11], v[14:15]
	v_add_f64 v[22:23], v[22:23], v[26:27]
	v_mul_f64 v[26:27], v[12:13], s[34:35]
	v_add_f64 v[24:25], v[24:25], v[30:31]
	v_fma_f64 v[30:31], v[14:15], s[14:15], -v[26:27]
	v_fmac_f64_e32 v[26:27], s[14:15], v[14:15]
	v_mul_f64 v[32:33], v[12:13], s[28:29]
	v_add_f64 v[26:27], v[26:27], v[36:37]
	v_fma_f64 v[34:35], v[14:15], s[8:9], -v[32:33]
	v_fmac_f64_e32 v[32:33], s[8:9], v[14:15]
	v_mul_f64 v[36:37], v[12:13], s[24:25]
	v_add_f64 v[30:31], v[30:31], v[38:39]
	v_add_f64 v[32:33], v[32:33], v[44:45]
	v_fma_f64 v[38:39], v[14:15], s[2:3], -v[36:37]
	v_fmac_f64_e32 v[36:37], s[2:3], v[14:15]
	v_mul_f64 v[44:45], v[12:13], s[38:39]
	v_mul_f64 v[12:13], v[12:13], s[36:37]
	v_add_f64 v[8:9], v[8:9], -v[16:17]
	v_add_f64 v[34:35], v[34:35], v[46:47]
	v_add_f64 v[36:37], v[36:37], v[48:49]
	v_fma_f64 v[46:47], v[14:15], s[20:21], -v[44:45]
	v_fmac_f64_e32 v[44:45], s[20:21], v[14:15]
	v_fma_f64 v[48:49], v[14:15], s[6:7], -v[12:13]
	v_fmac_f64_e32 v[12:13], s[6:7], v[14:15]
	v_add_f64 v[10:11], v[10:11], v[18:19]
	v_mul_f64 v[14:15], v[8:9], s[16:17]
	v_fma_f64 v[16:17], v[10:11], s[14:15], -v[14:15]
	v_fmac_f64_e32 v[14:15], s[14:15], v[10:11]
	v_add_f64 v[14:15], v[14:15], v[22:23]
	v_mul_f64 v[18:19], v[8:9], s[26:27]
	v_mul_f64 v[22:23], v[8:9], s[18:19]
	v_add_f64 v[92:93], v[92:93], v[106:107]
	v_add_f64 v[12:13], v[12:13], v[20:21]
	;; [unrolled: 1-line block ×3, first 2 shown]
	v_fma_f64 v[20:21], v[10:11], s[2:3], -v[18:19]
	v_fmac_f64_e32 v[18:19], s[2:3], v[10:11]
	v_fma_f64 v[24:25], v[10:11], s[6:7], -v[22:23]
	v_fmac_f64_e32 v[22:23], s[6:7], v[10:11]
	v_add_f64 v[90:91], v[90:91], v[104:105]
	v_add_f64 v[98:99], v[98:99], v[112:113]
	;; [unrolled: 1-line block ×5, first 2 shown]
	v_mul_f64 v[26:27], v[8:9], s[38:39]
	v_mul_f64 v[32:33], v[8:9], s[28:29]
	v_add_f64 v[0:1], v[0:1], -v[4:5]
	v_add_f64 v[50:51], v[50:51], v[90:91]
	v_add_f64 v[88:89], v[88:89], v[98:99]
	;; [unrolled: 1-line block ×5, first 2 shown]
	v_fma_f64 v[30:31], v[10:11], s[20:21], -v[26:27]
	v_fmac_f64_e32 v[26:27], s[20:21], v[10:11]
	v_fma_f64 v[34:35], v[10:11], s[8:9], -v[32:33]
	v_fmac_f64_e32 v[32:33], s[8:9], v[10:11]
	v_mul_f64 v[8:9], v[8:9], s[12:13]
	v_add_f64 v[2:3], v[2:3], v[6:7]
	v_mul_f64 v[4:5], v[0:1], s[22:23]
	v_add_f64 v[38:39], v[38:39], v[50:51]
	v_add_f64 v[48:49], v[48:49], v[88:89]
	;; [unrolled: 1-line block ×4, first 2 shown]
	v_fma_f64 v[32:33], v[10:11], s[10:11], -v[8:9]
	v_fma_f64 v[6:7], v[2:3], s[20:21], -v[4:5]
	v_fmac_f64_e32 v[4:5], s[20:21], v[2:3]
	v_add_f64 v[30:31], v[30:31], v[38:39]
	v_add_f64 v[38:39], v[32:33], v[48:49]
	v_fmac_f64_e32 v[8:9], s[10:11], v[10:11]
	v_add_f64 v[32:33], v[4:5], v[14:15]
	v_mul_f64 v[4:5], v[0:1], s[28:29]
	v_add_f64 v[94:95], v[94:95], v[110:111]
	v_add_f64 v[8:9], v[8:9], v[12:13]
	v_fma_f64 v[10:11], v[2:3], s[8:9], -v[4:5]
	v_mul_f64 v[12:13], v[0:1], s[16:17]
	v_add_f64 v[54:55], v[54:55], v[94:95]
	v_add_f64 v[6:7], v[6:7], v[16:17]
	;; [unrolled: 1-line block ×3, first 2 shown]
	v_fma_f64 v[14:15], v[2:3], s[14:15], -v[12:13]
	v_mul_f64 v[16:17], v[0:1], s[36:37]
	v_mul_f64 v[20:21], v[0:1], s[12:13]
	;; [unrolled: 1-line block ×3, first 2 shown]
	v_add_f64 v[46:47], v[46:47], v[54:55]
	v_fmac_f64_e32 v[4:5], s[8:9], v[2:3]
	v_add_f64 v[14:15], v[14:15], v[24:25]
	v_fmac_f64_e32 v[12:13], s[14:15], v[2:3]
	v_fma_f64 v[24:25], v[2:3], s[2:3], -v[0:1]
	v_fmac_f64_e32 v[0:1], s[2:3], v[2:3]
	v_add_f64 v[34:35], v[34:35], v[46:47]
	v_add_f64 v[4:5], v[4:5], v[18:19]
	;; [unrolled: 1-line block ×3, first 2 shown]
	v_fma_f64 v[18:19], v[2:3], s[6:7], -v[16:17]
	v_fmac_f64_e32 v[16:17], s[6:7], v[2:3]
	v_fma_f64 v[22:23], v[2:3], s[10:11], -v[20:21]
	v_fmac_f64_e32 v[20:21], s[10:11], v[2:3]
	v_add_f64 v[0:1], v[0:1], v[8:9]
	v_add_f64 v[18:19], v[18:19], v[30:31]
	;; [unrolled: 1-line block ×6, first 2 shown]
	s_waitcnt lgkmcnt(0)
	s_barrier
	ds_write2_b64 v82, v[80:81], v[6:7] offset1:1
	ds_write2_b64 v82, v[10:11], v[14:15] offset0:2 offset1:3
	ds_write2_b64 v82, v[18:19], v[22:23] offset0:4 offset1:5
	;; [unrolled: 1-line block ×5, first 2 shown]
	ds_write_b64 v82, v[32:33] offset:96
	s_waitcnt lgkmcnt(0)
	s_barrier
	ds_read2_b64 v[4:7], v83 offset0:93 offset1:161
	ds_read2_b64 v[48:51], v84 offset0:101 offset1:186
	;; [unrolled: 1-line block ×5, first 2 shown]
	ds_read_b64 v[98:99], v109
	ds_read_b64 v[12:13], v108 offset:6392
                                        ; implicit-def: $vgpr52_vgpr53
	s_and_saveexec_b64 s[2:3], vcc
	s_cbranch_execz .LBB0_14
; %bb.13:
	v_add_u32_e32 v8, 0x600, v108
	ds_read2_b64 v[32:35], v8 offset0:12 offset1:233
	v_add_u32_e32 v8, 0x1400, v108
	ds_read2_b64 v[52:55], v8 offset0:6 offset1:227
.LBB0_14:
	s_or_b64 exec, exec, s[2:3]
	s_movk_i32 s6, 0x4f
	v_add_u16_e32 v14, 0x44, v102
	v_mul_lo_u16_sdwa v8, v102, s6 dst_sel:DWORD dst_unused:UNUSED_PAD src0_sel:BYTE_0 src1_sel:DWORD
	v_mul_lo_u16_sdwa v15, v14, s6 dst_sel:DWORD dst_unused:UNUSED_PAD src0_sel:BYTE_0 src1_sel:DWORD
	v_lshrrev_b16_e32 v111, 10, v8
	v_lshrrev_b16_e32 v148, 10, v15
	v_mul_lo_u16_e32 v8, 13, v111
	v_mul_lo_u16_e32 v15, 13, v148
	v_sub_u16_e32 v146, v102, v8
	v_mov_b32_e32 v147, 3
	v_sub_u16_e32 v149, v14, v15
	v_mul_u32_u24_sdwa v8, v146, v147 dst_sel:DWORD dst_unused:UNUSED_PAD src0_sel:BYTE_0 src1_sel:DWORD
	v_mul_u32_u24_sdwa v14, v149, v147 dst_sel:DWORD dst_unused:UNUSED_PAD src0_sel:BYTE_0 src1_sel:DWORD
	v_lshlrev_b32_e32 v26, 4, v8
	v_lshlrev_b32_e32 v27, 4, v14
	global_load_dwordx4 v[80:83], v26, s[4:5] offset:16
	global_load_dwordx4 v[8:11], v26, s[4:5]
	global_load_dwordx4 v[14:17], v27, s[4:5] offset:32
	global_load_dwordx4 v[84:87], v27, s[4:5] offset:16
	;; [unrolled: 1-line block ×3, first 2 shown]
	global_load_dwordx4 v[22:25], v27, s[4:5]
	v_add_u16_e32 v26, 0x88, v102
	v_mul_lo_u16_sdwa v27, v26, s6 dst_sel:DWORD dst_unused:UNUSED_PAD src0_sel:BYTE_0 src1_sel:DWORD
	v_lshrrev_b16_e32 v150, 10, v27
	v_add_u32_e32 v110, 0xcc, v102
	v_mul_lo_u16_e32 v27, 13, v150
	s_movk_i32 s2, 0x4ec5
	v_sub_u16_e32 v151, v26, v27
	v_mul_u32_u24_sdwa v27, v110, s2 dst_sel:DWORD dst_unused:UNUSED_PAD src0_sel:WORD_0 src1_sel:DWORD
	v_lshrrev_b32_e32 v27, 18, v27
	v_mul_lo_u16_e32 v27, 13, v27
	v_mul_u32_u24_sdwa v26, v151, v147 dst_sel:DWORD dst_unused:UNUSED_PAD src0_sel:BYTE_0 src1_sel:DWORD
	v_sub_u16_e32 v152, v110, v27
	v_lshlrev_b32_e32 v26, 4, v26
	v_mul_u32_u24_e32 v27, 3, v152
	global_load_dwordx4 v[88:91], v26, s[4:5] offset:16
	global_load_dwordx4 v[104:107], v26, s[4:5]
	global_load_dwordx4 v[112:115], v26, s[4:5] offset:32
	v_lshlrev_b32_e32 v26, 4, v27
	global_load_dwordx4 v[116:119], v26, s[4:5]
	global_load_dwordx4 v[92:95], v26, s[4:5] offset:16
	global_load_dwordx4 v[120:123], v26, s[4:5] offset:32
	s_movk_i32 s7, 0x1a0
	s_waitcnt lgkmcnt(0)
	s_barrier
	s_waitcnt vmcnt(9)
	v_mul_f64 v[130:131], v[2:3], v[16:17]
	v_mul_f64 v[30:31], v[50:51], v[82:83]
	;; [unrolled: 1-line block ×3, first 2 shown]
	s_waitcnt vmcnt(7)
	v_mul_f64 v[124:125], v[0:1], v[20:21]
	v_mul_f64 v[10:11], v[72:73], v[10:11]
	;; [unrolled: 1-line block ×3, first 2 shown]
	s_waitcnt vmcnt(6)
	v_mul_f64 v[126:127], v[6:7], v[24:25]
	v_mul_f64 v[128:129], v[36:37], v[86:87]
	v_fmac_f64_e32 v[26:27], v[72:73], v[8:9]
	v_fmac_f64_e32 v[30:31], v[58:59], v[80:81]
	;; [unrolled: 1-line block ×3, first 2 shown]
	v_mul_f64 v[24:25], v[74:75], v[24:25]
	v_mul_f64 v[16:17], v[78:79], v[16:17]
	v_fma_f64 v[0:1], v[0:1], v[18:19], -v[20:21]
	v_fmac_f64_e32 v[126:127], v[74:75], v[22:23]
	v_fmac_f64_e32 v[128:129], v[60:61], v[84:85]
	;; [unrolled: 1-line block ×3, first 2 shown]
	s_waitcnt vmcnt(5)
	v_mul_f64 v[136:137], v[38:39], v[90:91]
	s_waitcnt vmcnt(4)
	v_mul_f64 v[132:133], v[48:49], v[106:107]
	;; [unrolled: 2-line block ×3, first 2 shown]
	v_mul_f64 v[118:119], v[42:43], v[118:119]
	v_mul_f64 v[134:135], v[56:57], v[106:107]
	;; [unrolled: 1-line block ×4, first 2 shown]
	v_fma_f64 v[106:107], v[4:5], v[8:9], -v[10:11]
	v_fma_f64 v[72:73], v[34:35], v[116:117], -v[118:119]
	v_add_f64 v[10:11], v[28:29], -v[30:31]
	v_add_f64 v[34:35], v[26:27], -v[124:125]
	v_fma_f64 v[76:77], v[6:7], v[22:23], -v[24:25]
	v_fma_f64 v[4:5], v[2:3], v[14:15], -v[16:17]
	;; [unrolled: 1-line block ×4, first 2 shown]
	v_fmac_f64_e32 v[140:141], v[42:43], v[116:117]
	v_add_f64 v[42:43], v[106:107], -v[0:1]
	v_add_f64 v[12:13], v[68:69], -v[128:129]
	v_fma_f64 v[14:15], v[28:29], 2.0, -v[10:11]
	v_fma_f64 v[0:1], v[26:27], 2.0, -v[34:35]
	v_add_f64 v[48:49], v[126:127], -v[130:131]
	s_waitcnt vmcnt(0)
	v_mul_f64 v[144:145], v[54:55], v[122:123]
	v_mul_f64 v[122:123], v[66:67], v[122:123]
	v_fmac_f64_e32 v[132:133], v[56:57], v[104:105]
	v_fmac_f64_e32 v[136:137], v[62:63], v[88:89]
	;; [unrolled: 1-line block ×3, first 2 shown]
	v_fma_f64 v[18:19], v[68:69], 2.0, -v[12:13]
	v_add_f64 v[2:3], v[14:15], -v[0:1]
	v_add_f64 v[56:57], v[76:77], -v[4:5]
	v_fma_f64 v[4:5], v[126:127], 2.0, -v[48:49]
	v_mul_f64 v[142:143], v[52:53], v[94:95]
	v_fma_f64 v[16:17], v[54:55], v[120:121], -v[122:123]
	v_add_f64 v[8:9], v[10:11], v[42:43]
	v_fma_f64 v[104:105], v[14:15], 2.0, -v[2:3]
	v_add_f64 v[14:15], v[18:19], -v[4:5]
	v_add_f64 v[4:5], v[70:71], -v[136:137]
	;; [unrolled: 1-line block ×3, first 2 shown]
	v_fmac_f64_e32 v[142:143], v[64:65], v[92:93]
	v_fmac_f64_e32 v[144:145], v[66:67], v[120:121]
	v_fma_f64 v[0:1], v[10:11], 2.0, -v[8:9]
	v_fma_f64 v[10:11], v[18:19], 2.0, -v[14:15]
	;; [unrolled: 1-line block ×3, first 2 shown]
	v_add_f64 v[66:67], v[74:75], -v[6:7]
	v_fma_f64 v[6:7], v[132:133], 2.0, -v[54:55]
	v_add_f64 v[30:31], v[18:19], -v[6:7]
	v_add_f64 v[24:25], v[4:5], v[66:67]
	v_add_f64 v[6:7], v[40:41], -v[142:143]
	v_fma_f64 v[28:29], v[4:5], 2.0, -v[24:25]
	v_fma_f64 v[4:5], v[40:41], 2.0, -v[6:7]
	v_add_f64 v[40:41], v[140:141], -v[144:145]
	v_add_f64 v[68:69], v[72:73], -v[16:17]
	v_fma_f64 v[16:17], v[140:141], 2.0, -v[40:41]
	v_fma_f64 v[22:23], v[18:19], 2.0, -v[30:31]
	v_add_f64 v[18:19], v[4:5], -v[16:17]
	v_fma_f64 v[26:27], v[4:5], 2.0, -v[18:19]
	v_add_f64 v[4:5], v[6:7], v[68:69]
	v_fma_f64 v[16:17], v[6:7], 2.0, -v[4:5]
	v_mad_u32_u24 v6, v111, s7, 0
	v_lshlrev_b32_sdwa v7, v147, v146 dst_sel:DWORD dst_unused:UNUSED_PAD src0_sel:DWORD src1_sel:BYTE_0
	v_lshlrev_b32_e32 v70, 3, v103
	v_add3_u32 v78, v6, v7, v70
	v_mad_u32_u24 v6, v148, s7, 0
	v_lshlrev_b32_sdwa v7, v147, v149 dst_sel:DWORD dst_unused:UNUSED_PAD src0_sel:DWORD src1_sel:BYTE_0
	v_add_f64 v[20:21], v[12:13], v[56:57]
	v_add3_u32 v79, v6, v7, v70
	v_mad_u32_u24 v6, v150, s7, 0
	v_lshlrev_b32_sdwa v7, v147, v151 dst_sel:DWORD dst_unused:UNUSED_PAD src0_sel:DWORD src1_sel:BYTE_0
	v_fma_f64 v[12:13], v[12:13], 2.0, -v[20:21]
	v_add3_u32 v96, v6, v7, v70
	v_lshlrev_b32_e32 v71, 3, v152
	ds_write2_b64 v78, v[104:105], v[0:1] offset1:13
	ds_write2_b64 v78, v[2:3], v[8:9] offset0:26 offset1:39
	ds_write2_b64 v79, v[10:11], v[12:13] offset1:13
	ds_write2_b64 v79, v[14:15], v[20:21] offset0:26 offset1:39
	;; [unrolled: 2-line block ×3, first 2 shown]
	s_and_saveexec_b64 s[2:3], vcc
	s_cbranch_execz .LBB0_16
; %bb.15:
	v_mul_lo_u16_sdwa v6, v110, s6 dst_sel:DWORD dst_unused:UNUSED_PAD src0_sel:BYTE_0 src1_sel:DWORD
	v_lshrrev_b16_e32 v6, 10, v6
	v_mad_u32_u24 v6, v6, s7, 0
	v_add3_u32 v6, v6, v71, v70
	ds_write2_b64 v6, v[26:27], v[16:17] offset1:13
	ds_write2_b64 v6, v[18:19], v[4:5] offset0:26 offset1:39
.LBB0_16:
	s_or_b64 exec, exec, s[2:3]
	v_cmp_gt_u32_e64 s[2:3], 52, v102
	s_waitcnt lgkmcnt(0)
	s_barrier
	s_and_saveexec_b64 s[6:7], s[2:3]
	s_cbranch_execz .LBB0_18
; %bb.17:
	v_add_u32_e32 v4, 0x800, v108
	ds_read_b64 v[104:105], v109
	ds_read2_b64 v[0:3], v108 offset0:52 offset1:104
	ds_read2_b64 v[8:11], v108 offset0:156 offset1:208
	;; [unrolled: 1-line block ×4, first 2 shown]
	v_add_u32_e32 v4, 0xc00, v108
	ds_read2_b64 v[28:31], v4 offset0:84 offset1:136
	v_add_u32_e32 v4, 0x1000, v108
	ds_read2_b64 v[24:27], v4 offset0:60 offset1:112
	ds_read2_b64 v[16:19], v4 offset0:164 offset1:216
	v_add_u32_e32 v4, 0x1800, v108
	ds_read2_b64 v[4:7], v4 offset0:12 offset1:64
.LBB0_18:
	s_or_b64 exec, exec, s[6:7]
	v_mul_f64 v[58:59], v[58:59], v[82:83]
	v_fma_f64 v[50:51], v[50:51], v[80:81], -v[58:59]
	v_mul_f64 v[58:59], v[60:61], v[86:87]
	v_fma_f64 v[58:59], v[36:37], v[84:85], -v[58:59]
	;; [unrolled: 2-line block ×3, first 2 shown]
	v_mul_f64 v[36:37], v[64:65], v[94:95]
	v_add_f64 v[50:51], v[98:99], -v[50:51]
	v_fma_f64 v[52:53], v[52:53], v[92:93], -v[36:37]
	v_fma_f64 v[36:37], v[106:107], 2.0, -v[42:43]
	v_add_f64 v[42:43], v[50:51], -v[34:35]
	v_add_f64 v[58:59], v[44:45], -v[58:59]
	v_fma_f64 v[60:61], v[98:99], 2.0, -v[50:51]
	v_fma_f64 v[34:35], v[50:51], 2.0, -v[42:43]
	;; [unrolled: 1-line block ×3, first 2 shown]
	v_add_f64 v[56:57], v[58:59], -v[48:49]
	v_add_f64 v[38:39], v[46:47], -v[38:39]
	v_fma_f64 v[44:45], v[44:45], 2.0, -v[58:59]
	v_fma_f64 v[48:49], v[58:59], 2.0, -v[56:57]
	;; [unrolled: 1-line block ×4, first 2 shown]
	v_add_f64 v[36:37], v[60:61], -v[36:37]
	v_add_f64 v[66:67], v[46:47], -v[58:59]
	v_fma_f64 v[106:107], v[60:61], 2.0, -v[36:37]
	v_fma_f64 v[58:59], v[46:47], 2.0, -v[66:67]
	v_add_f64 v[60:61], v[38:39], -v[54:55]
	v_add_f64 v[46:47], v[32:33], -v[52:53]
	v_fma_f64 v[64:65], v[38:39], 2.0, -v[60:61]
	v_fma_f64 v[32:33], v[32:33], 2.0, -v[46:47]
	;; [unrolled: 1-line block ×3, first 2 shown]
	v_add_f64 v[50:51], v[44:45], -v[50:51]
	v_add_f64 v[54:55], v[32:33], -v[38:39]
	;; [unrolled: 1-line block ×3, first 2 shown]
	v_fma_f64 v[44:45], v[44:45], 2.0, -v[50:51]
	v_fma_f64 v[62:63], v[32:33], 2.0, -v[54:55]
	;; [unrolled: 1-line block ×3, first 2 shown]
	s_waitcnt lgkmcnt(0)
	s_barrier
	ds_write2_b64 v78, v[106:107], v[34:35] offset1:13
	ds_write2_b64 v78, v[36:37], v[42:43] offset0:26 offset1:39
	ds_write2_b64 v79, v[44:45], v[48:49] offset1:13
	ds_write2_b64 v79, v[50:51], v[56:57] offset0:26 offset1:39
	;; [unrolled: 2-line block ×3, first 2 shown]
	s_and_saveexec_b64 s[6:7], vcc
	s_cbranch_execz .LBB0_20
; %bb.19:
	s_movk_i32 s8, 0x4f
	v_mul_lo_u16_sdwa v32, v110, s8 dst_sel:DWORD dst_unused:UNUSED_PAD src0_sel:BYTE_0 src1_sel:DWORD
	v_lshrrev_b16_e32 v32, 10, v32
	s_movk_i32 s8, 0x1a0
	v_mad_u32_u24 v32, v32, s8, 0
	v_add3_u32 v32, v32, v71, v70
	ds_write2_b64 v32, v[62:63], v[52:53] offset1:13
	ds_write2_b64 v32, v[54:55], v[38:39] offset0:26 offset1:39
.LBB0_20:
	s_or_b64 exec, exec, s[6:7]
	s_waitcnt lgkmcnt(0)
	s_barrier
	s_and_saveexec_b64 s[6:7], s[2:3]
	s_cbranch_execnz .LBB0_23
; %bb.21:
	s_or_b64 exec, exec, s[6:7]
	s_and_b64 s[0:1], s[0:1], s[2:3]
	s_and_saveexec_b64 s[2:3], s[0:1]
	s_cbranch_execnz .LBB0_24
.LBB0_22:
	s_endpgm
.LBB0_23:
	v_add_u32_e32 v32, 0x800, v108
	ds_read_b64 v[106:107], v109
	ds_read2_b64 v[34:37], v108 offset0:52 offset1:104
	ds_read2_b64 v[42:45], v108 offset0:156 offset1:208
	;; [unrolled: 1-line block ×4, first 2 shown]
	v_add_u32_e32 v32, 0xc00, v108
	ds_read2_b64 v[64:67], v32 offset0:84 offset1:136
	v_add_u32_e32 v32, 0x1000, v108
	ds_read2_b64 v[60:63], v32 offset0:60 offset1:112
	ds_read2_b64 v[52:55], v32 offset0:164 offset1:216
	v_add_u32_e32 v32, 0x1800, v108
	ds_read2_b64 v[38:41], v32 offset0:12 offset1:64
	s_or_b64 exec, exec, s[6:7]
	s_and_b64 s[0:1], s[0:1], s[2:3]
	s_and_saveexec_b64 s[2:3], s[0:1]
	s_cbranch_execz .LBB0_22
.LBB0_24:
	v_lshlrev_b32_e32 v108, 4, v102
	v_mov_b32_e32 v109, 0
	v_lshl_add_u64 v[32:33], v[108:109], 4, s[4:5]
	global_load_dwordx4 v[68:71], v[32:33], off offset:736
	global_load_dwordx4 v[72:75], v[32:33], off offset:720
	;; [unrolled: 1-line block ×16, first 2 shown]
	s_mov_b32 s22, 0xacd6c6b4
	s_mov_b32 s26, 0x5d8e7cdc
	;; [unrolled: 1-line block ×46, first 2 shown]
	v_mov_b32_e32 v103, v109
	v_or_b32_e32 v108, 0x340, v102
	s_waitcnt vmcnt(15) lgkmcnt(4)
	v_mul_f64 v[110:111], v[58:59], v[70:71]
	v_mul_f64 v[32:33], v[22:23], v[70:71]
	s_waitcnt vmcnt(14)
	v_mul_f64 v[112:113], v[56:57], v[74:75]
	v_mul_f64 v[46:47], v[20:21], v[74:75]
	s_waitcnt vmcnt(13)
	v_mul_f64 v[132:133], v[28:29], v[98:99]
	s_waitcnt vmcnt(12) lgkmcnt(3)
	v_mul_f64 v[74:75], v[66:67], v[94:95]
	v_mul_f64 v[134:135], v[30:31], v[94:95]
	v_mul_f64 v[70:71], v[64:65], v[98:99]
	s_waitcnt vmcnt(11)
	v_mul_f64 v[94:95], v[50:51], v[90:91]
	v_mul_f64 v[136:137], v[14:15], v[90:91]
	s_waitcnt vmcnt(10)
	v_mul_f64 v[90:91], v[48:49], v[86:87]
	v_mul_f64 v[138:139], v[12:13], v[86:87]
	s_waitcnt vmcnt(9) lgkmcnt(2)
	v_mul_f64 v[86:87], v[60:61], v[82:83]
	v_mul_f64 v[140:141], v[24:25], v[82:83]
	s_waitcnt vmcnt(8)
	v_mul_f64 v[82:83], v[62:63], v[78:79]
	v_mul_f64 v[146:147], v[26:27], v[78:79]
	s_waitcnt vmcnt(6) lgkmcnt(1)
	v_mul_f64 v[98:99], v[52:53], v[122:123]
	v_mul_f64 v[122:123], v[16:17], v[122:123]
	v_fmac_f64_e32 v[110:111], v[22:23], v[68:69]
	v_fma_f64 v[58:59], v[58:59], v[68:69], -v[32:33]
	v_fma_f64 v[68:69], v[56:57], v[72:73], -v[46:47]
	;; [unrolled: 1-line block ×3, first 2 shown]
	v_fmac_f64_e32 v[74:75], v[30:31], v[92:93]
	v_fma_f64 v[64:65], v[66:67], v[92:93], -v[134:135]
	s_waitcnt vmcnt(2)
	v_mul_f64 v[92:93], v[34:35], v[150:151]
	v_mul_f64 v[114:115], v[42:43], v[126:127]
	;; [unrolled: 1-line block ×3, first 2 shown]
	v_fmac_f64_e32 v[82:83], v[26:27], v[76:77]
	v_fma_f64 v[62:63], v[62:63], v[76:77], -v[146:147]
	v_fma_f64 v[76:77], v[52:53], v[120:121], -v[122:123]
	v_mul_f64 v[52:53], v[54:55], v[130:131]
	v_fmac_f64_e32 v[92:93], v[0:1], v[148:149]
	v_mul_f64 v[0:1], v[0:1], v[150:151]
	v_fmac_f64_e32 v[112:113], v[20:21], v[72:73]
	v_fmac_f64_e32 v[90:91], v[12:13], v[84:85]
	v_fma_f64 v[72:73], v[48:49], v[84:85], -v[138:139]
	v_fmac_f64_e32 v[114:115], v[8:9], v[124:125]
	v_fma_f64 v[84:85], v[42:43], v[124:125], -v[126:127]
	v_fmac_f64_e32 v[52:53], v[18:19], v[128:129]
	v_mul_f64 v[18:19], v[18:19], v[130:131]
	v_fma_f64 v[132:133], v[34:35], v[148:149], -v[0:1]
	s_waitcnt vmcnt(1)
	v_mul_f64 v[0:1], v[4:5], v[154:155]
	s_waitcnt vmcnt(0) lgkmcnt(0)
	v_mul_f64 v[124:125], v[40:41], v[158:159]
	v_fmac_f64_e32 v[70:71], v[28:29], v[96:97]
	v_fmac_f64_e32 v[94:95], v[14:15], v[88:89]
	v_fma_f64 v[66:67], v[50:51], v[88:89], -v[136:137]
	v_fma_f64 v[54:55], v[54:55], v[128:129], -v[18:19]
	v_mul_f64 v[88:89], v[36:37], v[144:145]
	v_mul_f64 v[96:97], v[38:39], v[154:155]
	v_fma_f64 v[128:129], v[38:39], v[152:153], -v[0:1]
	v_fmac_f64_e32 v[124:125], v[6:7], v[156:157]
	v_mul_f64 v[0:1], v[6:7], v[158:159]
	v_mul_f64 v[78:79], v[44:45], v[118:119]
	v_mul_f64 v[118:119], v[10:11], v[118:119]
	v_fmac_f64_e32 v[88:89], v[2:3], v[142:143]
	v_mul_f64 v[2:3], v[2:3], v[144:145]
	v_fmac_f64_e32 v[96:97], v[4:5], v[152:153]
	v_fma_f64 v[130:131], v[40:41], v[156:157], -v[0:1]
	v_add_f64 v[166:167], v[92:93], -v[124:125]
	v_fmac_f64_e32 v[86:87], v[24:25], v[80:81]
	v_fma_f64 v[60:61], v[60:61], v[80:81], -v[140:141]
	v_fmac_f64_e32 v[78:79], v[10:11], v[116:117]
	v_fma_f64 v[80:81], v[44:45], v[116:117], -v[118:119]
	v_fma_f64 v[116:117], v[36:37], v[142:143], -v[2:3]
	v_add_f64 v[162:163], v[88:89], -v[96:97]
	v_mul_f64 v[4:5], v[166:167], s[22:23]
	v_add_f64 v[148:149], v[132:133], v[130:131]
	v_fmac_f64_e32 v[98:99], v[16:17], v[120:121]
	v_add_f64 v[146:147], v[114:115], -v[52:53]
	v_mul_f64 v[22:23], v[162:163], s[26:27]
	v_add_f64 v[144:145], v[116:117], v[128:129]
	v_fma_f64 v[0:1], s[20:21], v[148:149], v[4:5]
	v_add_f64 v[140:141], v[78:79], -v[98:99]
	v_mul_f64 v[18:19], v[146:147], s[14:15]
	v_add_f64 v[142:143], v[84:85], v[54:55]
	v_fma_f64 v[2:3], s[16:17], v[144:145], v[22:23]
	v_add_f64 v[0:1], v[106:107], v[0:1]
	v_add_f64 v[138:139], v[90:91], -v[82:83]
	v_mul_f64 v[20:21], v[140:141], s[30:31]
	v_add_f64 v[126:127], v[80:81], v[76:77]
	v_add_f64 v[0:1], v[2:3], v[0:1]
	v_fma_f64 v[2:3], s[18:19], v[142:143], v[18:19]
	v_add_f64 v[136:137], v[94:95], -v[86:87]
	v_add_f64 v[122:123], v[72:73], v[62:63]
	v_mul_f64 v[12:13], v[138:139], s[8:9]
	v_add_f64 v[0:1], v[2:3], v[0:1]
	v_fma_f64 v[2:3], s[10:11], v[126:127], v[20:21]
	v_add_f64 v[134:135], v[112:113], -v[74:75]
	v_add_f64 v[120:121], v[66:67], v[60:61]
	v_mul_f64 v[10:11], v[136:137], s[12:13]
	v_add_f64 v[0:1], v[2:3], v[0:1]
	v_fma_f64 v[2:3], s[4:5], v[122:123], v[12:13]
	v_add_f64 v[118:119], v[68:69], v[64:65]
	v_mul_f64 v[8:9], v[134:135], s[6:7]
	v_fma_f64 v[16:17], s[0:1], v[120:121], v[10:11]
	v_add_f64 v[0:1], v[2:3], v[0:1]
	v_add_f64 v[170:171], v[132:133], -v[130:131]
	v_fma_f64 v[14:15], s[2:3], v[118:119], v[8:9]
	v_add_f64 v[0:1], v[16:17], v[0:1]
	v_add_f64 v[150:151], v[92:93], v[124:125]
	v_mul_f64 v[6:7], v[170:171], s[22:23]
	v_add_f64 v[176:177], v[116:117], -v[128:129]
	v_add_f64 v[0:1], v[14:15], v[0:1]
	v_fma_f64 v[2:3], v[150:151], s[20:21], -v[6:7]
	v_add_f64 v[152:153], v[88:89], v[96:97]
	v_mul_f64 v[14:15], v[176:177], s[26:27]
	v_add_f64 v[2:3], v[104:105], v[2:3]
	v_fma_f64 v[16:17], v[152:153], s[16:17], -v[14:15]
	v_add_f64 v[172:173], v[84:85], -v[54:55]
	v_add_f64 v[2:3], v[16:17], v[2:3]
	v_add_f64 v[154:155], v[114:115], v[52:53]
	v_mul_f64 v[16:17], v[172:173], s[14:15]
	v_fma_f64 v[24:25], v[154:155], s[18:19], -v[16:17]
	v_add_f64 v[174:175], v[80:81], -v[76:77]
	v_add_f64 v[2:3], v[24:25], v[2:3]
	v_add_f64 v[156:157], v[78:79], v[98:99]
	v_mul_f64 v[24:25], v[174:175], s[30:31]
	;; [unrolled: 5-line block ×3, first 2 shown]
	v_fma_f64 v[4:5], v[148:149], s[20:21], -v[4:5]
	v_fmac_f64_e32 v[6:7], s[20:21], v[150:151]
	v_fma_f64 v[28:29], v[158:159], s[4:5], -v[26:27]
	v_add_f64 v[182:183], v[66:67], -v[60:61]
	v_fma_f64 v[22:23], v[144:145], s[16:17], -v[22:23]
	v_add_f64 v[4:5], v[106:107], v[4:5]
	v_fmac_f64_e32 v[14:15], s[16:17], v[152:153]
	v_add_f64 v[6:7], v[104:105], v[6:7]
	v_add_f64 v[2:3], v[28:29], v[2:3]
	v_add_f64 v[160:161], v[94:95], v[86:87]
	v_mul_f64 v[28:29], v[182:183], s[12:13]
	v_add_f64 v[4:5], v[22:23], v[4:5]
	v_fma_f64 v[18:19], v[142:143], s[18:19], -v[18:19]
	v_add_f64 v[6:7], v[14:15], v[6:7]
	v_fmac_f64_e32 v[16:17], s[18:19], v[154:155]
	v_fma_f64 v[30:31], v[160:161], s[0:1], -v[28:29]
	v_add_f64 v[184:185], v[68:69], -v[64:65]
	v_add_f64 v[4:5], v[18:19], v[4:5]
	v_fma_f64 v[18:19], v[126:127], s[10:11], -v[20:21]
	v_add_f64 v[6:7], v[16:17], v[6:7]
	v_fmac_f64_e32 v[24:25], s[10:11], v[156:157]
	v_add_f64 v[2:3], v[30:31], v[2:3]
	v_add_f64 v[164:165], v[112:113], v[74:75]
	v_mul_f64 v[30:31], v[184:185], s[6:7]
	v_add_f64 v[186:187], v[110:111], -v[70:71]
	v_add_f64 v[4:5], v[18:19], v[4:5]
	v_fma_f64 v[12:13], v[122:123], s[4:5], -v[12:13]
	v_add_f64 v[6:7], v[24:25], v[6:7]
	v_fmac_f64_e32 v[26:27], s[4:5], v[158:159]
	v_fma_f64 v[32:33], v[164:165], s[2:3], -v[30:31]
	v_mul_f64 v[34:35], v[186:187], s[46:47]
	v_add_f64 v[180:181], v[58:59], v[56:57]
	v_add_f64 v[188:189], v[58:59], -v[56:57]
	v_add_f64 v[4:5], v[12:13], v[4:5]
	v_fma_f64 v[10:11], v[120:121], s[0:1], -v[10:11]
	v_add_f64 v[6:7], v[26:27], v[6:7]
	v_fmac_f64_e32 v[28:29], s[0:1], v[160:161]
	v_add_f64 v[32:33], v[32:33], v[2:3]
	v_fma_f64 v[2:3], s[24:25], v[180:181], v[34:35]
	v_add_f64 v[168:169], v[110:111], v[70:71]
	v_mul_f64 v[36:37], v[188:189], s[46:47]
	v_add_f64 v[4:5], v[10:11], v[4:5]
	v_fma_f64 v[8:9], v[118:119], s[2:3], -v[8:9]
	v_add_f64 v[6:7], v[28:29], v[6:7]
	v_fmac_f64_e32 v[30:31], s[2:3], v[164:165]
	v_add_f64 v[2:3], v[2:3], v[0:1]
	v_fma_f64 v[0:1], v[168:169], s[24:25], -v[36:37]
	v_add_f64 v[4:5], v[8:9], v[4:5]
	v_add_f64 v[8:9], v[30:31], v[6:7]
	v_fma_f64 v[6:7], v[180:181], s[24:25], -v[34:35]
	v_fmac_f64_e32 v[36:37], s[24:25], v[168:169]
	v_mul_f64 v[12:13], v[166:167], s[14:15]
	v_add_f64 v[6:7], v[6:7], v[4:5]
	v_add_f64 v[4:5], v[36:37], v[8:9]
	v_fma_f64 v[8:9], s[18:19], v[148:149], v[12:13]
	v_mul_f64 v[14:15], v[162:163], s[12:13]
	v_add_f64 v[8:9], v[106:107], v[8:9]
	v_fma_f64 v[10:11], s[0:1], v[144:145], v[14:15]
	v_mul_f64 v[16:17], v[146:147], s[28:29]
	;; [unrolled: 3-line block ×7, first 2 shown]
	v_add_f64 v[8:9], v[10:11], v[8:9]
	v_fma_f64 v[10:11], v[150:151], s[18:19], -v[26:27]
	v_mul_f64 v[28:29], v[176:177], s[12:13]
	v_fma_f64 v[12:13], v[148:149], s[18:19], -v[12:13]
	v_add_f64 v[10:11], v[104:105], v[10:11]
	v_fma_f64 v[30:31], v[152:153], s[0:1], -v[28:29]
	v_fma_f64 v[14:15], v[144:145], s[0:1], -v[14:15]
	v_add_f64 v[12:13], v[106:107], v[12:13]
	v_add_f64 v[10:11], v[30:31], v[10:11]
	v_mul_f64 v[30:31], v[172:173], s[28:29]
	v_add_f64 v[12:13], v[14:15], v[12:13]
	v_fma_f64 v[14:15], v[142:143], s[24:25], -v[16:17]
	v_add_f64 v[0:1], v[0:1], v[32:33]
	v_fma_f64 v[32:33], v[154:155], s[24:25], -v[30:31]
	;; [unrolled: 2-line block ×3, first 2 shown]
	v_add_f64 v[10:11], v[32:33], v[10:11]
	v_mul_f64 v[32:33], v[174:175], s[42:43]
	v_add_f64 v[12:13], v[14:15], v[12:13]
	v_fma_f64 v[14:15], v[122:123], s[16:17], -v[20:21]
	v_fma_f64 v[34:35], v[156:157], s[4:5], -v[32:33]
	v_add_f64 v[12:13], v[14:15], v[12:13]
	v_fma_f64 v[14:15], v[120:121], s[20:21], -v[22:23]
	v_add_f64 v[10:11], v[34:35], v[10:11]
	v_mul_f64 v[34:35], v[178:179], s[34:35]
	v_add_f64 v[12:13], v[14:15], v[12:13]
	v_fma_f64 v[14:15], v[118:119], s[10:11], -v[24:25]
	v_fmac_f64_e32 v[26:27], s[18:19], v[150:151]
	v_fma_f64 v[36:37], v[158:159], s[16:17], -v[34:35]
	v_add_f64 v[12:13], v[14:15], v[12:13]
	v_fmac_f64_e32 v[28:29], s[0:1], v[152:153]
	v_add_f64 v[14:15], v[104:105], v[26:27]
	v_add_f64 v[10:11], v[36:37], v[10:11]
	v_mul_f64 v[36:37], v[182:183], s[22:23]
	v_add_f64 v[14:15], v[28:29], v[14:15]
	v_fmac_f64_e32 v[30:31], s[24:25], v[154:155]
	v_fma_f64 v[38:39], v[160:161], s[20:21], -v[36:37]
	v_add_f64 v[14:15], v[30:31], v[14:15]
	v_fmac_f64_e32 v[32:33], s[4:5], v[156:157]
	v_add_f64 v[10:11], v[38:39], v[10:11]
	v_mul_f64 v[38:39], v[184:185], s[30:31]
	v_add_f64 v[14:15], v[32:33], v[14:15]
	v_fmac_f64_e32 v[34:35], s[16:17], v[158:159]
	v_fma_f64 v[40:41], v[164:165], s[10:11], -v[38:39]
	v_mul_f64 v[42:43], v[186:187], s[6:7]
	v_add_f64 v[14:15], v[34:35], v[14:15]
	v_fmac_f64_e32 v[36:37], s[20:21], v[160:161]
	v_add_f64 v[40:41], v[40:41], v[10:11]
	v_fma_f64 v[10:11], s[2:3], v[180:181], v[42:43]
	v_mul_f64 v[44:45], v[188:189], s[6:7]
	v_add_f64 v[14:15], v[36:37], v[14:15]
	v_fmac_f64_e32 v[38:39], s[10:11], v[164:165]
	v_add_f64 v[10:11], v[10:11], v[8:9]
	v_fma_f64 v[8:9], v[168:169], s[2:3], -v[44:45]
	v_add_f64 v[16:17], v[38:39], v[14:15]
	v_fma_f64 v[14:15], v[180:181], s[2:3], -v[42:43]
	v_fmac_f64_e32 v[44:45], s[2:3], v[168:169]
	v_mul_f64 v[20:21], v[166:167], s[8:9]
	v_add_f64 v[14:15], v[14:15], v[12:13]
	v_add_f64 v[12:13], v[44:45], v[16:17]
	v_fma_f64 v[16:17], s[4:5], v[148:149], v[20:21]
	v_mul_f64 v[22:23], v[162:163], s[38:39]
	v_add_f64 v[16:17], v[106:107], v[16:17]
	v_fma_f64 v[18:19], s[2:3], v[144:145], v[22:23]
	v_mul_f64 v[24:25], v[146:147], s[34:35]
	;; [unrolled: 3-line block ×7, first 2 shown]
	v_add_f64 v[16:17], v[18:19], v[16:17]
	v_fma_f64 v[18:19], v[150:151], s[4:5], -v[34:35]
	v_mul_f64 v[36:37], v[176:177], s[38:39]
	v_fma_f64 v[20:21], v[148:149], s[4:5], -v[20:21]
	v_add_f64 v[18:19], v[104:105], v[18:19]
	v_fma_f64 v[38:39], v[152:153], s[2:3], -v[36:37]
	v_fma_f64 v[22:23], v[144:145], s[2:3], -v[22:23]
	v_add_f64 v[20:21], v[106:107], v[20:21]
	v_add_f64 v[18:19], v[38:39], v[18:19]
	v_mul_f64 v[38:39], v[172:173], s[34:35]
	v_add_f64 v[20:21], v[22:23], v[20:21]
	v_fma_f64 v[22:23], v[142:143], s[16:17], -v[24:25]
	v_add_f64 v[8:9], v[8:9], v[40:41]
	v_fma_f64 v[40:41], v[154:155], s[16:17], -v[38:39]
	;; [unrolled: 2-line block ×3, first 2 shown]
	v_add_f64 v[18:19], v[40:41], v[18:19]
	v_mul_f64 v[40:41], v[174:175], s[14:15]
	v_add_f64 v[20:21], v[22:23], v[20:21]
	v_fma_f64 v[22:23], v[122:123], s[24:25], -v[28:29]
	v_fma_f64 v[42:43], v[156:157], s[18:19], -v[40:41]
	v_add_f64 v[20:21], v[22:23], v[20:21]
	v_fma_f64 v[22:23], v[120:121], s[10:11], -v[30:31]
	v_add_f64 v[18:19], v[42:43], v[18:19]
	v_mul_f64 v[42:43], v[178:179], s[46:47]
	v_add_f64 v[20:21], v[22:23], v[20:21]
	v_fma_f64 v[22:23], v[118:119], s[20:21], -v[32:33]
	v_fmac_f64_e32 v[34:35], s[4:5], v[150:151]
	v_fma_f64 v[44:45], v[158:159], s[24:25], -v[42:43]
	v_add_f64 v[20:21], v[22:23], v[20:21]
	v_fmac_f64_e32 v[36:37], s[2:3], v[152:153]
	v_add_f64 v[22:23], v[104:105], v[34:35]
	v_add_f64 v[18:19], v[44:45], v[18:19]
	v_mul_f64 v[44:45], v[182:183], s[36:37]
	v_add_f64 v[22:23], v[36:37], v[22:23]
	v_fmac_f64_e32 v[38:39], s[16:17], v[154:155]
	v_fma_f64 v[46:47], v[160:161], s[10:11], -v[44:45]
	v_add_f64 v[22:23], v[38:39], v[22:23]
	v_fmac_f64_e32 v[40:41], s[18:19], v[156:157]
	v_add_f64 v[18:19], v[46:47], v[18:19]
	v_mul_f64 v[46:47], v[184:185], s[22:23]
	v_add_f64 v[22:23], v[40:41], v[22:23]
	v_fmac_f64_e32 v[42:43], s[24:25], v[158:159]
	v_fma_f64 v[48:49], v[164:165], s[20:21], -v[46:47]
	v_mul_f64 v[50:51], v[186:187], s[12:13]
	v_add_f64 v[22:23], v[42:43], v[22:23]
	v_fmac_f64_e32 v[44:45], s[10:11], v[160:161]
	v_add_f64 v[48:49], v[48:49], v[18:19]
	v_fma_f64 v[18:19], s[0:1], v[180:181], v[50:51]
	v_mul_f64 v[190:191], v[188:189], s[12:13]
	v_add_f64 v[22:23], v[44:45], v[22:23]
	v_fmac_f64_e32 v[46:47], s[20:21], v[164:165]
	v_add_f64 v[18:19], v[18:19], v[16:17]
	v_fma_f64 v[16:17], v[168:169], s[0:1], -v[190:191]
	v_add_f64 v[24:25], v[46:47], v[22:23]
	v_fma_f64 v[22:23], v[180:181], s[0:1], -v[50:51]
	v_fmac_f64_e32 v[190:191], s[0:1], v[168:169]
	v_mul_f64 v[28:29], v[166:167], s[6:7]
	v_add_f64 v[22:23], v[22:23], v[20:21]
	v_add_f64 v[20:21], v[190:191], v[24:25]
	v_fma_f64 v[24:25], s[2:3], v[148:149], v[28:29]
	v_mul_f64 v[30:31], v[162:163], s[44:45]
	v_add_f64 v[24:25], v[106:107], v[24:25]
	v_fma_f64 v[26:27], s[18:19], v[144:145], v[30:31]
	v_mul_f64 v[32:33], v[146:147], s[30:31]
	v_add_f64 v[24:25], v[26:27], v[24:25]
	v_fma_f64 v[26:27], s[10:11], v[142:143], v[32:33]
	v_mul_f64 v[34:35], v[140:141], s[40:41]
	v_add_f64 v[24:25], v[26:27], v[24:25]
	v_fma_f64 v[26:27], s[0:1], v[126:127], v[34:35]
	v_mul_f64 v[36:37], v[138:139], s[22:23]
	v_add_f64 v[24:25], v[26:27], v[24:25]
	v_fma_f64 v[26:27], s[20:21], v[122:123], v[36:37]
	v_mul_f64 v[38:39], v[136:137], s[46:47]
	v_add_f64 v[24:25], v[26:27], v[24:25]
	v_fma_f64 v[26:27], s[24:25], v[120:121], v[38:39]
	v_mul_f64 v[40:41], v[134:135], s[34:35]
	v_add_f64 v[24:25], v[26:27], v[24:25]
	v_fma_f64 v[26:27], s[16:17], v[118:119], v[40:41]
	v_mul_f64 v[42:43], v[170:171], s[6:7]
	v_add_f64 v[24:25], v[26:27], v[24:25]
	v_fma_f64 v[26:27], v[150:151], s[2:3], -v[42:43]
	v_mul_f64 v[44:45], v[176:177], s[44:45]
	v_fma_f64 v[28:29], v[148:149], s[2:3], -v[28:29]
	v_add_f64 v[26:27], v[104:105], v[26:27]
	v_fma_f64 v[46:47], v[152:153], s[18:19], -v[44:45]
	v_fma_f64 v[30:31], v[144:145], s[18:19], -v[30:31]
	v_add_f64 v[28:29], v[106:107], v[28:29]
	v_add_f64 v[26:27], v[46:47], v[26:27]
	v_mul_f64 v[46:47], v[172:173], s[30:31]
	v_add_f64 v[28:29], v[30:31], v[28:29]
	v_fma_f64 v[30:31], v[142:143], s[10:11], -v[32:33]
	v_add_f64 v[16:17], v[16:17], v[48:49]
	v_fma_f64 v[48:49], v[154:155], s[10:11], -v[46:47]
	;; [unrolled: 2-line block ×3, first 2 shown]
	v_add_f64 v[26:27], v[48:49], v[26:27]
	v_mul_f64 v[48:49], v[174:175], s[40:41]
	v_add_f64 v[28:29], v[30:31], v[28:29]
	v_fma_f64 v[30:31], v[122:123], s[20:21], -v[36:37]
	v_fma_f64 v[50:51], v[156:157], s[0:1], -v[48:49]
	v_add_f64 v[28:29], v[30:31], v[28:29]
	v_fma_f64 v[30:31], v[120:121], s[24:25], -v[38:39]
	v_add_f64 v[26:27], v[50:51], v[26:27]
	v_mul_f64 v[50:51], v[178:179], s[22:23]
	v_add_f64 v[28:29], v[30:31], v[28:29]
	v_fma_f64 v[30:31], v[118:119], s[16:17], -v[40:41]
	v_fmac_f64_e32 v[42:43], s[2:3], v[150:151]
	v_fma_f64 v[190:191], v[158:159], s[20:21], -v[50:51]
	v_add_f64 v[28:29], v[30:31], v[28:29]
	v_fmac_f64_e32 v[44:45], s[18:19], v[152:153]
	v_add_f64 v[30:31], v[104:105], v[42:43]
	v_add_f64 v[26:27], v[190:191], v[26:27]
	v_mul_f64 v[190:191], v[182:183], s[46:47]
	v_add_f64 v[30:31], v[44:45], v[30:31]
	v_fmac_f64_e32 v[46:47], s[10:11], v[154:155]
	v_fma_f64 v[192:193], v[160:161], s[24:25], -v[190:191]
	v_add_f64 v[30:31], v[46:47], v[30:31]
	v_fmac_f64_e32 v[48:49], s[0:1], v[156:157]
	v_add_f64 v[26:27], v[192:193], v[26:27]
	v_mul_f64 v[192:193], v[184:185], s[34:35]
	v_add_f64 v[30:31], v[48:49], v[30:31]
	v_fmac_f64_e32 v[50:51], s[20:21], v[158:159]
	v_fma_f64 v[194:195], v[164:165], s[16:17], -v[192:193]
	v_mul_f64 v[196:197], v[186:187], s[8:9]
	v_add_f64 v[30:31], v[50:51], v[30:31]
	v_fmac_f64_e32 v[190:191], s[24:25], v[160:161]
	v_add_f64 v[194:195], v[194:195], v[26:27]
	v_fma_f64 v[26:27], s[4:5], v[180:181], v[196:197]
	v_mul_f64 v[198:199], v[188:189], s[8:9]
	v_add_f64 v[30:31], v[190:191], v[30:31]
	v_fmac_f64_e32 v[192:193], s[16:17], v[164:165]
	v_add_f64 v[26:27], v[26:27], v[24:25]
	v_fma_f64 v[24:25], v[168:169], s[4:5], -v[198:199]
	v_add_f64 v[32:33], v[192:193], v[30:31]
	v_fma_f64 v[30:31], v[180:181], s[4:5], -v[196:197]
	v_fmac_f64_e32 v[198:199], s[4:5], v[168:169]
	v_mul_f64 v[36:37], v[166:167], s[28:29]
	v_add_f64 v[30:31], v[30:31], v[28:29]
	v_add_f64 v[28:29], v[198:199], v[32:33]
	v_fma_f64 v[32:33], s[24:25], v[148:149], v[36:37]
	v_mul_f64 v[38:39], v[162:163], s[22:23]
	v_add_f64 v[32:33], v[106:107], v[32:33]
	v_fma_f64 v[34:35], s[20:21], v[144:145], v[38:39]
	v_mul_f64 v[40:41], v[146:147], s[38:39]
	;; [unrolled: 3-line block ×7, first 2 shown]
	v_add_f64 v[32:33], v[34:35], v[32:33]
	v_fma_f64 v[34:35], v[150:151], s[24:25], -v[50:51]
	v_mul_f64 v[190:191], v[176:177], s[22:23]
	v_fma_f64 v[36:37], v[148:149], s[24:25], -v[36:37]
	v_add_f64 v[34:35], v[104:105], v[34:35]
	v_fma_f64 v[192:193], v[152:153], s[20:21], -v[190:191]
	v_fma_f64 v[38:39], v[144:145], s[20:21], -v[38:39]
	v_add_f64 v[36:37], v[106:107], v[36:37]
	v_add_f64 v[34:35], v[192:193], v[34:35]
	v_mul_f64 v[192:193], v[172:173], s[38:39]
	v_add_f64 v[36:37], v[38:39], v[36:37]
	v_fma_f64 v[38:39], v[142:143], s[2:3], -v[40:41]
	v_add_f64 v[24:25], v[24:25], v[194:195]
	v_fma_f64 v[194:195], v[154:155], s[2:3], -v[192:193]
	;; [unrolled: 2-line block ×3, first 2 shown]
	v_add_f64 v[34:35], v[194:195], v[34:35]
	v_mul_f64 v[194:195], v[174:175], s[26:27]
	v_add_f64 v[36:37], v[38:39], v[36:37]
	v_fma_f64 v[38:39], v[122:123], s[0:1], -v[44:45]
	v_fma_f64 v[196:197], v[156:157], s[16:17], -v[194:195]
	v_add_f64 v[36:37], v[38:39], v[36:37]
	v_fma_f64 v[38:39], v[120:121], s[18:19], -v[46:47]
	v_add_f64 v[34:35], v[196:197], v[34:35]
	v_mul_f64 v[196:197], v[178:179], s[40:41]
	v_add_f64 v[36:37], v[38:39], v[36:37]
	v_fma_f64 v[38:39], v[118:119], s[4:5], -v[48:49]
	v_fmac_f64_e32 v[50:51], s[24:25], v[150:151]
	v_fma_f64 v[198:199], v[158:159], s[0:1], -v[196:197]
	v_add_f64 v[36:37], v[38:39], v[36:37]
	v_fmac_f64_e32 v[190:191], s[20:21], v[152:153]
	v_add_f64 v[38:39], v[104:105], v[50:51]
	v_add_f64 v[34:35], v[198:199], v[34:35]
	v_mul_f64 v[198:199], v[182:183], s[14:15]
	v_add_f64 v[38:39], v[190:191], v[38:39]
	v_fmac_f64_e32 v[192:193], s[2:3], v[154:155]
	v_fma_f64 v[200:201], v[160:161], s[18:19], -v[198:199]
	v_add_f64 v[38:39], v[192:193], v[38:39]
	v_fmac_f64_e32 v[194:195], s[16:17], v[156:157]
	v_add_f64 v[34:35], v[200:201], v[34:35]
	v_mul_f64 v[200:201], v[184:185], s[42:43]
	v_add_f64 v[38:39], v[194:195], v[38:39]
	v_fmac_f64_e32 v[196:197], s[0:1], v[158:159]
	v_fma_f64 v[202:203], v[164:165], s[4:5], -v[200:201]
	v_mul_f64 v[204:205], v[186:187], s[30:31]
	v_add_f64 v[38:39], v[196:197], v[38:39]
	v_fmac_f64_e32 v[198:199], s[18:19], v[160:161]
	v_add_f64 v[202:203], v[202:203], v[34:35]
	v_fma_f64 v[34:35], s[10:11], v[180:181], v[204:205]
	v_mul_f64 v[206:207], v[188:189], s[30:31]
	v_add_f64 v[38:39], v[198:199], v[38:39]
	v_fmac_f64_e32 v[200:201], s[4:5], v[164:165]
	v_add_f64 v[34:35], v[34:35], v[32:33]
	v_fma_f64 v[32:33], v[168:169], s[10:11], -v[206:207]
	v_add_f64 v[40:41], v[200:201], v[38:39]
	v_fma_f64 v[38:39], v[180:181], s[10:11], -v[204:205]
	v_fmac_f64_e32 v[206:207], s[10:11], v[168:169]
	v_mul_f64 v[44:45], v[166:167], s[40:41]
	v_add_f64 v[38:39], v[38:39], v[36:37]
	v_add_f64 v[36:37], v[206:207], v[40:41]
	v_fma_f64 v[40:41], s[0:1], v[148:149], v[44:45]
	v_mul_f64 v[46:47], v[162:163], s[8:9]
	s_mov_b32 s43, 0x3fc7851a
	s_mov_b32 s42, s22
	v_add_f64 v[40:41], v[106:107], v[40:41]
	v_fma_f64 v[42:43], s[4:5], v[144:145], v[46:47]
	v_mul_f64 v[48:49], v[146:147], s[42:43]
	v_add_f64 v[40:41], v[42:43], v[40:41]
	v_fma_f64 v[42:43], s[20:21], v[142:143], v[48:49]
	v_mul_f64 v[50:51], v[140:141], s[38:39]
	;; [unrolled: 3-line block ×6, first 2 shown]
	v_add_f64 v[40:41], v[42:43], v[40:41]
	v_fma_f64 v[42:43], v[150:151], s[0:1], -v[196:197]
	v_mul_f64 v[198:199], v[176:177], s[8:9]
	v_fma_f64 v[44:45], v[148:149], s[0:1], -v[44:45]
	v_add_f64 v[42:43], v[104:105], v[42:43]
	v_fma_f64 v[200:201], v[152:153], s[4:5], -v[198:199]
	v_fma_f64 v[46:47], v[144:145], s[4:5], -v[46:47]
	v_add_f64 v[44:45], v[106:107], v[44:45]
	v_add_f64 v[42:43], v[200:201], v[42:43]
	v_mul_f64 v[200:201], v[172:173], s[42:43]
	v_add_f64 v[44:45], v[46:47], v[44:45]
	v_fma_f64 v[46:47], v[142:143], s[20:21], -v[48:49]
	v_add_f64 v[32:33], v[32:33], v[202:203]
	v_fma_f64 v[202:203], v[154:155], s[20:21], -v[200:201]
	;; [unrolled: 2-line block ×3, first 2 shown]
	v_add_f64 v[42:43], v[202:203], v[42:43]
	v_mul_f64 v[202:203], v[174:175], s[38:39]
	v_add_f64 v[44:45], v[46:47], v[44:45]
	v_fma_f64 v[46:47], v[122:123], s[10:11], -v[190:191]
	v_fma_f64 v[204:205], v[156:157], s[2:3], -v[202:203]
	v_add_f64 v[44:45], v[46:47], v[44:45]
	v_fma_f64 v[46:47], v[120:121], s[16:17], -v[192:193]
	v_add_f64 v[42:43], v[204:205], v[42:43]
	v_mul_f64 v[204:205], v[178:179], s[30:31]
	v_add_f64 v[44:45], v[46:47], v[44:45]
	v_fma_f64 v[46:47], v[118:119], s[24:25], -v[194:195]
	v_fmac_f64_e32 v[196:197], s[0:1], v[150:151]
	v_fma_f64 v[206:207], v[158:159], s[10:11], -v[204:205]
	v_add_f64 v[44:45], v[46:47], v[44:45]
	v_fmac_f64_e32 v[198:199], s[4:5], v[152:153]
	v_add_f64 v[46:47], v[104:105], v[196:197]
	v_add_f64 v[42:43], v[206:207], v[42:43]
	v_mul_f64 v[206:207], v[182:183], s[34:35]
	v_add_f64 v[46:47], v[198:199], v[46:47]
	v_fmac_f64_e32 v[200:201], s[20:21], v[154:155]
	v_fma_f64 v[208:209], v[160:161], s[16:17], -v[206:207]
	v_add_f64 v[46:47], v[200:201], v[46:47]
	v_fmac_f64_e32 v[202:203], s[2:3], v[156:157]
	v_add_f64 v[42:43], v[208:209], v[42:43]
	v_mul_f64 v[208:209], v[184:185], s[28:29]
	v_add_f64 v[46:47], v[202:203], v[46:47]
	v_fmac_f64_e32 v[204:205], s[10:11], v[158:159]
	v_fma_f64 v[210:211], v[164:165], s[24:25], -v[208:209]
	v_mul_f64 v[212:213], v[186:187], s[14:15]
	v_add_f64 v[46:47], v[204:205], v[46:47]
	v_fmac_f64_e32 v[206:207], s[16:17], v[160:161]
	v_add_f64 v[210:211], v[210:211], v[42:43]
	v_fma_f64 v[42:43], s[18:19], v[180:181], v[212:213]
	v_mul_f64 v[214:215], v[188:189], s[14:15]
	v_add_f64 v[46:47], v[206:207], v[46:47]
	v_fmac_f64_e32 v[208:209], s[24:25], v[164:165]
	v_add_f64 v[42:43], v[42:43], v[40:41]
	v_fma_f64 v[40:41], v[168:169], s[18:19], -v[214:215]
	v_add_f64 v[48:49], v[208:209], v[46:47]
	v_fma_f64 v[46:47], v[180:181], s[18:19], -v[212:213]
	v_fmac_f64_e32 v[214:215], s[18:19], v[168:169]
	v_mul_f64 v[190:191], v[166:167], s[36:37]
	v_add_f64 v[46:47], v[46:47], v[44:45]
	v_add_f64 v[44:45], v[214:215], v[48:49]
	v_fma_f64 v[48:49], s[10:11], v[148:149], v[190:191]
	v_mul_f64 v[192:193], v[162:163], s[28:29]
	v_add_f64 v[48:49], v[106:107], v[48:49]
	v_fma_f64 v[50:51], s[24:25], v[144:145], v[192:193]
	v_mul_f64 v[194:195], v[146:147], s[8:9]
	;; [unrolled: 3-line block ×7, first 2 shown]
	v_add_f64 v[48:49], v[50:51], v[48:49]
	v_fma_f64 v[50:51], v[150:151], s[10:11], -v[204:205]
	v_mul_f64 v[206:207], v[176:177], s[28:29]
	v_fma_f64 v[190:191], v[148:149], s[10:11], -v[190:191]
	v_add_f64 v[50:51], v[104:105], v[50:51]
	v_fma_f64 v[208:209], v[152:153], s[24:25], -v[206:207]
	v_fma_f64 v[192:193], v[144:145], s[24:25], -v[192:193]
	v_add_f64 v[190:191], v[106:107], v[190:191]
	v_add_f64 v[50:51], v[208:209], v[50:51]
	v_mul_f64 v[208:209], v[172:173], s[8:9]
	v_add_f64 v[190:191], v[192:193], v[190:191]
	v_fma_f64 v[192:193], v[142:143], s[4:5], -v[194:195]
	v_add_f64 v[40:41], v[40:41], v[210:211]
	v_fma_f64 v[210:211], v[154:155], s[4:5], -v[208:209]
	;; [unrolled: 2-line block ×3, first 2 shown]
	v_add_f64 v[50:51], v[210:211], v[50:51]
	v_mul_f64 v[210:211], v[174:175], s[22:23]
	v_add_f64 v[190:191], v[192:193], v[190:191]
	v_fma_f64 v[192:193], v[122:123], s[18:19], -v[198:199]
	v_fma_f64 v[212:213], v[156:157], s[20:21], -v[210:211]
	v_add_f64 v[190:191], v[192:193], v[190:191]
	v_fma_f64 v[192:193], v[120:121], s[2:3], -v[200:201]
	v_add_f64 v[50:51], v[212:213], v[50:51]
	v_mul_f64 v[212:213], v[178:179], s[44:45]
	v_add_f64 v[190:191], v[192:193], v[190:191]
	v_fma_f64 v[192:193], v[118:119], s[0:1], -v[202:203]
	v_fmac_f64_e32 v[204:205], s[10:11], v[150:151]
	v_fma_f64 v[214:215], v[158:159], s[18:19], -v[212:213]
	v_add_f64 v[190:191], v[192:193], v[190:191]
	v_fmac_f64_e32 v[206:207], s[24:25], v[152:153]
	v_add_f64 v[192:193], v[104:105], v[204:205]
	v_add_f64 v[50:51], v[214:215], v[50:51]
	v_mul_f64 v[214:215], v[182:183], s[38:39]
	v_add_f64 v[192:193], v[206:207], v[192:193]
	v_fmac_f64_e32 v[208:209], s[4:5], v[154:155]
	v_fma_f64 v[216:217], v[160:161], s[2:3], -v[214:215]
	v_add_f64 v[192:193], v[208:209], v[192:193]
	v_fmac_f64_e32 v[210:211], s[20:21], v[156:157]
	v_add_f64 v[50:51], v[216:217], v[50:51]
	v_mul_f64 v[216:217], v[184:185], s[12:13]
	v_add_f64 v[192:193], v[210:211], v[192:193]
	v_fmac_f64_e32 v[212:213], s[18:19], v[158:159]
	v_fma_f64 v[218:219], v[164:165], s[0:1], -v[216:217]
	v_mul_f64 v[220:221], v[186:187], s[26:27]
	v_add_f64 v[192:193], v[212:213], v[192:193]
	v_fmac_f64_e32 v[214:215], s[2:3], v[160:161]
	v_add_f64 v[218:219], v[218:219], v[50:51]
	v_fma_f64 v[50:51], s[16:17], v[180:181], v[220:221]
	v_mul_f64 v[222:223], v[188:189], s[26:27]
	v_add_f64 v[192:193], v[214:215], v[192:193]
	v_fmac_f64_e32 v[216:217], s[0:1], v[164:165]
	v_add_f64 v[50:51], v[50:51], v[48:49]
	v_fma_f64 v[48:49], v[168:169], s[16:17], -v[222:223]
	v_add_f64 v[194:195], v[216:217], v[192:193]
	v_fma_f64 v[192:193], v[180:181], s[16:17], -v[220:221]
	v_fmac_f64_e32 v[222:223], s[16:17], v[168:169]
	v_mul_f64 v[166:167], v[166:167], s[34:35]
	v_add_f64 v[192:193], v[192:193], v[190:191]
	v_add_f64 v[190:191], v[222:223], v[194:195]
	v_mul_f64 v[162:163], v[162:163], s[36:37]
	v_fma_f64 v[194:195], s[16:17], v[148:149], v[166:167]
	v_add_f64 v[194:195], v[106:107], v[194:195]
	v_fma_f64 v[196:197], s[10:11], v[144:145], v[162:163]
	v_mul_f64 v[146:147], v[146:147], s[40:41]
	v_add_f64 v[194:195], v[196:197], v[194:195]
	v_fma_f64 v[196:197], s[0:1], v[142:143], v[146:147]
	v_mul_f64 v[140:141], v[140:141], s[28:29]
	;; [unrolled: 3-line block ×3, first 2 shown]
	v_add_f64 v[194:195], v[196:197], v[194:195]
	v_fma_f64 v[196:197], s[2:3], v[122:123], v[138:139]
	v_fma_f64 v[122:123], v[122:123], s[2:3], -v[138:139]
	v_fma_f64 v[138:139], v[142:143], s[0:1], -v[146:147]
	;; [unrolled: 1-line block ×3, first 2 shown]
	v_add_f64 v[142:143], v[106:107], v[142:143]
	v_add_f64 v[106:107], v[106:107], v[132:133]
	;; [unrolled: 1-line block ×19, first 2 shown]
	v_mul_f64 v[196:197], v[136:137], s[8:9]
	v_fma_f64 v[126:127], v[126:127], s[24:25], -v[140:141]
	v_fma_f64 v[140:141], v[144:145], s[10:11], -v[162:163]
	v_add_f64 v[56:57], v[78:79], v[56:57]
	v_fma_f64 v[136:137], s[4:5], v[120:121], v[196:197]
	v_add_f64 v[140:141], v[140:141], v[142:143]
	v_add_f64 v[56:57], v[90:91], v[56:57]
	;; [unrolled: 1-line block ×3, first 2 shown]
	v_mul_f64 v[194:195], v[134:135], s[14:15]
	v_add_f64 v[138:139], v[138:139], v[140:141]
	v_add_f64 v[56:57], v[94:95], v[56:57]
	v_fma_f64 v[134:135], s[18:19], v[118:119], v[194:195]
	v_mul_f64 v[170:171], v[170:171], s[34:35]
	v_add_f64 v[126:127], v[126:127], v[138:139]
	v_add_f64 v[56:57], v[112:113], v[56:57]
	;; [unrolled: 1-line block ×3, first 2 shown]
	v_mul_f64 v[176:177], v[176:177], s[36:37]
	v_fma_f64 v[136:137], v[150:151], s[16:17], -v[170:171]
	v_fma_f64 v[120:121], v[120:121], s[4:5], -v[196:197]
	v_add_f64 v[122:123], v[122:123], v[126:127]
	v_add_f64 v[56:57], v[110:111], v[56:57]
	;; [unrolled: 1-line block ×3, first 2 shown]
	v_fma_f64 v[198:199], v[152:153], s[10:11], -v[176:177]
	v_mul_f64 v[172:173], v[172:173], s[40:41]
	v_fma_f64 v[118:119], v[118:119], s[18:19], -v[194:195]
	v_add_f64 v[120:121], v[120:121], v[122:123]
	v_fmac_f64_e32 v[170:171], s[16:17], v[150:151]
	v_add_f64 v[56:57], v[70:71], v[56:57]
	v_add_f64 v[136:137], v[198:199], v[136:137]
	v_fma_f64 v[198:199], v[154:155], s[0:1], -v[172:173]
	v_mul_f64 v[174:175], v[174:175], s[28:29]
	v_add_f64 v[118:119], v[118:119], v[120:121]
	v_fmac_f64_e32 v[176:177], s[10:11], v[152:153]
	v_add_f64 v[120:121], v[104:105], v[170:171]
	v_add_f64 v[56:57], v[74:75], v[56:57]
	v_add_f64 v[136:137], v[198:199], v[136:137]
	v_fma_f64 v[198:199], v[156:157], s[24:25], -v[174:175]
	v_mul_f64 v[178:179], v[178:179], s[6:7]
	v_fmac_f64_e32 v[172:173], s[0:1], v[154:155]
	v_add_f64 v[120:121], v[176:177], v[120:121]
	v_add_f64 v[56:57], v[86:87], v[56:57]
	v_add_f64 v[136:137], v[198:199], v[136:137]
	v_fma_f64 v[198:199], v[158:159], s[2:3], -v[178:179]
	v_mul_f64 v[182:183], v[182:183], s[8:9]
	v_fmac_f64_e32 v[174:175], s[24:25], v[156:157]
	v_add_f64 v[120:121], v[172:173], v[120:121]
	v_add_f64 v[56:57], v[82:83], v[56:57]
	v_add_f64 v[136:137], v[198:199], v[136:137]
	v_fma_f64 v[198:199], v[160:161], s[4:5], -v[182:183]
	v_mul_f64 v[184:185], v[184:185], s[14:15]
	v_fmac_f64_e32 v[178:179], s[2:3], v[158:159]
	v_add_f64 v[120:121], v[174:175], v[120:121]
	v_add_f64 v[56:57], v[98:99], v[56:57]
	v_add_f64 v[136:137], v[198:199], v[136:137]
	v_fma_f64 v[198:199], v[164:165], s[18:19], -v[184:185]
	v_mul_f64 v[186:187], v[186:187], s[22:23]
	v_fmac_f64_e32 v[182:183], s[4:5], v[160:161]
	v_add_f64 v[120:121], v[178:179], v[120:121]
	v_add_f64 v[52:53], v[52:53], v[56:57]
	;; [unrolled: 1-line block ×3, first 2 shown]
	v_fma_f64 v[136:137], s[20:21], v[180:181], v[186:187]
	v_mul_f64 v[188:189], v[188:189], s[22:23]
	v_fmac_f64_e32 v[184:185], s[18:19], v[164:165]
	v_add_f64 v[120:121], v[182:183], v[120:121]
	v_add_f64 v[54:55], v[128:129], v[54:55]
	;; [unrolled: 1-line block ×4, first 2 shown]
	v_fma_f64 v[134:135], v[168:169], s[20:21], -v[188:189]
	v_fma_f64 v[180:181], v[180:181], s[20:21], -v[186:187]
	v_fmac_f64_e32 v[188:189], s[20:21], v[168:169]
	v_add_f64 v[122:123], v[184:185], v[120:121]
	v_add_f64 v[54:55], v[130:131], v[54:55]
	;; [unrolled: 1-line block ×3, first 2 shown]
	v_lshl_add_u64 v[56:57], v[102:103], 4, v[100:101]
	s_movk_i32 s0, 0x1000
	v_add_f64 v[120:121], v[180:181], v[118:119]
	v_add_f64 v[118:119], v[188:189], v[122:123]
	global_store_dwordx4 v[56:57], v[52:55], off
	global_store_dwordx4 v[56:57], v[118:121], off offset:832
	global_store_dwordx4 v[56:57], v[190:193], off offset:1664
	;; [unrolled: 1-line block ×4, first 2 shown]
	v_add_f64 v[48:49], v[48:49], v[218:219]
	v_add_f64 v[134:135], v[134:135], v[198:199]
	v_add_co_u32_e32 v36, vcc, s0, v56
	s_movk_i32 s0, 0x2000
	s_nop 0
	v_addc_co_u32_e32 v37, vcc, 0, v57, vcc
	global_store_dwordx4 v[36:37], v[28:31], off offset:64
	global_store_dwordx4 v[36:37], v[20:23], off offset:896
	;; [unrolled: 1-line block ×5, first 2 shown]
	s_nop 1
	v_add_co_u32_e32 v0, vcc, s0, v56
	s_nop 1
	v_addc_co_u32_e32 v1, vcc, 0, v57, vcc
	global_store_dwordx4 v[0:1], v[8:11], off offset:128
	global_store_dwordx4 v[0:1], v[16:19], off offset:960
	global_store_dwordx4 v[0:1], v[24:27], off offset:1792
	global_store_dwordx4 v[0:1], v[32:35], off offset:2624
	global_store_dwordx4 v[0:1], v[40:43], off offset:3456
	v_add_co_u32_e32 v0, vcc, 0x3000, v56
	s_nop 1
	v_addc_co_u32_e32 v1, vcc, 0, v57, vcc
	global_store_dwordx4 v[0:1], v[48:51], off offset:192
	v_lshl_add_u64 v[0:1], v[108:109], 4, v[100:101]
	global_store_dwordx4 v[0:1], v[134:137], off
	s_endpgm
	.section	.rodata,"a",@progbits
	.p2align	6, 0x0
	.amdhsa_kernel fft_rtc_back_len884_factors_13_4_17_wgs_204_tpt_68_halfLds_dp_ip_CI_unitstride_sbrr_dirReg
		.amdhsa_group_segment_fixed_size 0
		.amdhsa_private_segment_fixed_size 0
		.amdhsa_kernarg_size 88
		.amdhsa_user_sgpr_count 2
		.amdhsa_user_sgpr_dispatch_ptr 0
		.amdhsa_user_sgpr_queue_ptr 0
		.amdhsa_user_sgpr_kernarg_segment_ptr 1
		.amdhsa_user_sgpr_dispatch_id 0
		.amdhsa_user_sgpr_kernarg_preload_length 0
		.amdhsa_user_sgpr_kernarg_preload_offset 0
		.amdhsa_user_sgpr_private_segment_size 0
		.amdhsa_uses_dynamic_stack 0
		.amdhsa_enable_private_segment 0
		.amdhsa_system_sgpr_workgroup_id_x 1
		.amdhsa_system_sgpr_workgroup_id_y 0
		.amdhsa_system_sgpr_workgroup_id_z 0
		.amdhsa_system_sgpr_workgroup_info 0
		.amdhsa_system_vgpr_workitem_id 0
		.amdhsa_next_free_vgpr 224
		.amdhsa_next_free_sgpr 48
		.amdhsa_accum_offset 224
		.amdhsa_reserve_vcc 1
		.amdhsa_float_round_mode_32 0
		.amdhsa_float_round_mode_16_64 0
		.amdhsa_float_denorm_mode_32 3
		.amdhsa_float_denorm_mode_16_64 3
		.amdhsa_dx10_clamp 1
		.amdhsa_ieee_mode 1
		.amdhsa_fp16_overflow 0
		.amdhsa_tg_split 0
		.amdhsa_exception_fp_ieee_invalid_op 0
		.amdhsa_exception_fp_denorm_src 0
		.amdhsa_exception_fp_ieee_div_zero 0
		.amdhsa_exception_fp_ieee_overflow 0
		.amdhsa_exception_fp_ieee_underflow 0
		.amdhsa_exception_fp_ieee_inexact 0
		.amdhsa_exception_int_div_zero 0
	.end_amdhsa_kernel
	.text
.Lfunc_end0:
	.size	fft_rtc_back_len884_factors_13_4_17_wgs_204_tpt_68_halfLds_dp_ip_CI_unitstride_sbrr_dirReg, .Lfunc_end0-fft_rtc_back_len884_factors_13_4_17_wgs_204_tpt_68_halfLds_dp_ip_CI_unitstride_sbrr_dirReg
                                        ; -- End function
	.section	.AMDGPU.csdata,"",@progbits
; Kernel info:
; codeLenInByte = 13588
; NumSgprs: 54
; NumVgprs: 224
; NumAgprs: 0
; TotalNumVgprs: 224
; ScratchSize: 0
; MemoryBound: 1
; FloatMode: 240
; IeeeMode: 1
; LDSByteSize: 0 bytes/workgroup (compile time only)
; SGPRBlocks: 6
; VGPRBlocks: 27
; NumSGPRsForWavesPerEU: 54
; NumVGPRsForWavesPerEU: 224
; AccumOffset: 224
; Occupancy: 2
; WaveLimiterHint : 1
; COMPUTE_PGM_RSRC2:SCRATCH_EN: 0
; COMPUTE_PGM_RSRC2:USER_SGPR: 2
; COMPUTE_PGM_RSRC2:TRAP_HANDLER: 0
; COMPUTE_PGM_RSRC2:TGID_X_EN: 1
; COMPUTE_PGM_RSRC2:TGID_Y_EN: 0
; COMPUTE_PGM_RSRC2:TGID_Z_EN: 0
; COMPUTE_PGM_RSRC2:TIDIG_COMP_CNT: 0
; COMPUTE_PGM_RSRC3_GFX90A:ACCUM_OFFSET: 55
; COMPUTE_PGM_RSRC3_GFX90A:TG_SPLIT: 0
	.text
	.p2alignl 6, 3212836864
	.fill 256, 4, 3212836864
	.type	__hip_cuid_4df907d8b21701db,@object ; @__hip_cuid_4df907d8b21701db
	.section	.bss,"aw",@nobits
	.globl	__hip_cuid_4df907d8b21701db
__hip_cuid_4df907d8b21701db:
	.byte	0                               ; 0x0
	.size	__hip_cuid_4df907d8b21701db, 1

	.ident	"AMD clang version 19.0.0git (https://github.com/RadeonOpenCompute/llvm-project roc-6.4.0 25133 c7fe45cf4b819c5991fe208aaa96edf142730f1d)"
	.section	".note.GNU-stack","",@progbits
	.addrsig
	.addrsig_sym __hip_cuid_4df907d8b21701db
	.amdgpu_metadata
---
amdhsa.kernels:
  - .agpr_count:     0
    .args:
      - .actual_access:  read_only
        .address_space:  global
        .offset:         0
        .size:           8
        .value_kind:     global_buffer
      - .offset:         8
        .size:           8
        .value_kind:     by_value
      - .actual_access:  read_only
        .address_space:  global
        .offset:         16
        .size:           8
        .value_kind:     global_buffer
      - .actual_access:  read_only
        .address_space:  global
        .offset:         24
        .size:           8
        .value_kind:     global_buffer
      - .offset:         32
        .size:           8
        .value_kind:     by_value
      - .actual_access:  read_only
        .address_space:  global
        .offset:         40
        .size:           8
        .value_kind:     global_buffer
      - .actual_access:  read_only
        .address_space:  global
        .offset:         48
        .size:           8
        .value_kind:     global_buffer
      - .offset:         56
        .size:           4
        .value_kind:     by_value
      - .actual_access:  read_only
        .address_space:  global
        .offset:         64
        .size:           8
        .value_kind:     global_buffer
      - .actual_access:  read_only
        .address_space:  global
        .offset:         72
        .size:           8
        .value_kind:     global_buffer
      - .address_space:  global
        .offset:         80
        .size:           8
        .value_kind:     global_buffer
    .group_segment_fixed_size: 0
    .kernarg_segment_align: 8
    .kernarg_segment_size: 88
    .language:       OpenCL C
    .language_version:
      - 2
      - 0
    .max_flat_workgroup_size: 204
    .name:           fft_rtc_back_len884_factors_13_4_17_wgs_204_tpt_68_halfLds_dp_ip_CI_unitstride_sbrr_dirReg
    .private_segment_fixed_size: 0
    .sgpr_count:     54
    .sgpr_spill_count: 0
    .symbol:         fft_rtc_back_len884_factors_13_4_17_wgs_204_tpt_68_halfLds_dp_ip_CI_unitstride_sbrr_dirReg.kd
    .uniform_work_group_size: 1
    .uses_dynamic_stack: false
    .vgpr_count:     224
    .vgpr_spill_count: 0
    .wavefront_size: 64
amdhsa.target:   amdgcn-amd-amdhsa--gfx950
amdhsa.version:
  - 1
  - 2
...

	.end_amdgpu_metadata
